;; amdgpu-corpus repo=ROCm/rocFFT kind=compiled arch=gfx1201 opt=O3
	.text
	.amdgcn_target "amdgcn-amd-amdhsa--gfx1201"
	.amdhsa_code_object_version 6
	.protected	bluestein_single_back_len1575_dim1_dp_op_CI_CI ; -- Begin function bluestein_single_back_len1575_dim1_dp_op_CI_CI
	.globl	bluestein_single_back_len1575_dim1_dp_op_CI_CI
	.p2align	8
	.type	bluestein_single_back_len1575_dim1_dp_op_CI_CI,@function
bluestein_single_back_len1575_dim1_dp_op_CI_CI: ; @bluestein_single_back_len1575_dim1_dp_op_CI_CI
; %bb.0:
	s_load_b128 s[8:11], s[0:1], 0x28
	v_mul_u32_u24_e32 v1, 0x411, v0
	s_mov_b32 s2, exec_lo
	v_mov_b32_e32 v6, 0
	s_delay_alu instid0(VALU_DEP_2) | instskip(NEXT) | instid1(VALU_DEP_1)
	v_lshrrev_b32_e32 v1, 16, v1
	v_add_nc_u32_e32 v5, ttmp9, v1
	s_wait_kmcnt 0x0
	s_delay_alu instid0(VALU_DEP_1)
	v_cmpx_gt_u64_e64 s[8:9], v[5:6]
	s_cbranch_execz .LBB0_31
; %bb.1:
	s_clause 0x1
	s_load_b128 s[4:7], s[0:1], 0x18
	s_load_b64 s[16:17], s[0:1], 0x0
	v_mul_lo_u16 v1, v1, 63
	s_movk_i32 s2, 0xfc25
	s_mov_b32 s3, -1
	v_mov_b32_e32 v6, v5
	s_delay_alu instid0(VALU_DEP_2) | instskip(NEXT) | instid1(VALU_DEP_1)
	v_sub_nc_u16 v2, v0, v1
	v_and_b32_e32 v7, 0xffff, v2
	s_delay_alu instid0(VALU_DEP_1)
	v_lshlrev_b32_e32 v108, 4, v7
	s_wait_kmcnt 0x0
	s_load_b128 s[12:15], s[4:5], 0x0
	s_clause 0x9
	global_load_b128 v[221:224], v108, s[16:17]
	global_load_b128 v[201:204], v108, s[16:17] offset:1008
	global_load_b128 v[229:232], v108, s[16:17] offset:8400
	;; [unrolled: 1-line block ×9, first 2 shown]
	scratch_store_b64 off, v[6:7], off offset:28 ; 8-byte Folded Spill
	s_wait_kmcnt 0x0
	v_mad_co_u64_u32 v[0:1], null, s14, v5, 0
	v_mad_co_u64_u32 v[3:4], null, s12, v7, 0
	s_mul_u64 s[4:5], s[12:13], 0x20d
	s_mul_u64 s[2:3], s[12:13], s[2:3]
	s_delay_alu instid0(SALU_CYCLE_1) | instskip(NEXT) | instid1(VALU_DEP_2)
	s_lshl_b64 s[2:3], s[2:3], 4
	v_mad_co_u64_u32 v[5:6], null, s15, v5, v[1:2]
	s_delay_alu instid0(VALU_DEP_1)
	v_mov_b32_e32 v1, v5
	s_clause 0x1
	global_load_b128 v[213:216], v108, s[16:17] offset:18816
	global_load_b128 v[189:192], v108, s[16:17] offset:19824
	scratch_store_b32 off, v7, off          ; 4-byte Folded Spill
	v_mad_co_u64_u32 v[6:7], null, s13, v7, v[4:5]
	v_lshlrev_b64_e32 v[0:1], 4, v[0:1]
	s_clause 0x9
	global_load_b128 v[185:188], v108, s[16:17] offset:4032
	global_load_b128 v[149:152], v108, s[16:17] offset:5040
	;; [unrolled: 1-line block ×10, first 2 shown]
	v_mov_b32_e32 v4, v6
	v_add_co_u32 v0, vcc_lo, s10, v0
	v_add_co_ci_u32_e32 v1, vcc_lo, s11, v1, vcc_lo
	s_delay_alu instid0(VALU_DEP_3) | instskip(SKIP_1) | instid1(VALU_DEP_1)
	v_lshlrev_b64_e32 v[3:4], 4, v[3:4]
	s_lshl_b64 s[10:11], s[4:5], 4
	v_add_co_u32 v0, vcc_lo, v0, v3
	s_wait_alu 0xfffd
	s_delay_alu instid0(VALU_DEP_2) | instskip(SKIP_1) | instid1(VALU_DEP_2)
	v_add_co_ci_u32_e32 v1, vcc_lo, v1, v4, vcc_lo
	s_wait_alu 0xfffe
	v_add_co_u32 v7, vcc_lo, v0, s10
	s_wait_alu 0xfffd
	s_delay_alu instid0(VALU_DEP_2) | instskip(NEXT) | instid1(VALU_DEP_2)
	v_add_co_ci_u32_e32 v8, vcc_lo, s11, v1, vcc_lo
	v_add_co_u32 v11, vcc_lo, v7, s10
	s_wait_alu 0xfffd
	s_delay_alu instid0(VALU_DEP_2)
	v_add_co_ci_u32_e32 v12, vcc_lo, s11, v8, vcc_lo
	s_clause 0x1
	global_load_b128 v[3:6], v[0:1], off
	global_load_b128 v[7:10], v[7:8], off
	v_add_co_u32 v15, vcc_lo, v11, s2
	s_wait_alu 0xfffd
	v_add_co_ci_u32_e32 v16, vcc_lo, s3, v12, vcc_lo
	s_delay_alu instid0(VALU_DEP_2) | instskip(SKIP_1) | instid1(VALU_DEP_2)
	v_add_co_u32 v0, vcc_lo, v15, s10
	s_wait_alu 0xfffd
	v_add_co_ci_u32_e32 v1, vcc_lo, s11, v16, vcc_lo
	s_clause 0x1
	global_load_b128 v[11:14], v[11:12], off
	global_load_b128 v[15:18], v[15:16], off
	v_add_co_u32 v23, vcc_lo, v0, s10
	s_wait_alu 0xfffd
	v_add_co_ci_u32_e32 v24, vcc_lo, s11, v1, vcc_lo
	global_load_b128 v[19:22], v[0:1], off
	v_add_co_u32 v0, vcc_lo, v23, s2
	s_wait_alu 0xfffd
	v_add_co_ci_u32_e32 v1, vcc_lo, s3, v24, vcc_lo
	;; [unrolled: 4-line block ×19, first 2 shown]
	global_load_b128 v[209:212], v108, s[16:17] offset:15456
	global_load_b128 v[91:94], v[91:92], off
	global_load_b128 v[217:220], v108, s[16:17] offset:23856
	global_load_b128 v[95:98], v[0:1], off
	v_cmp_gt_u16_e32 vcc_lo, 21, v2
	s_wait_loadcnt 0x2b
	scratch_store_b128 off, v[233:236], off offset:372 ; 16-byte Folded Spill
	s_wait_loadcnt 0x2a
	scratch_store_b128 off, v[237:240], off offset:388 ; 16-byte Folded Spill
	s_wait_loadcnt 0x29
	s_clause 0x4
	scratch_store_b128 off, v[241:244], off offset:404
	scratch_store_b128 off, v[221:224], off offset:324
	;; [unrolled: 1-line block ×5, first 2 shown]
	s_wait_loadcnt 0x26
	s_clause 0x2
	scratch_store_b128 off, v[197:200], off offset:228
	scratch_store_b128 off, v[205:208], off offset:260
	;; [unrolled: 1-line block ×3, first 2 shown]
	s_wait_loadcnt 0x25
	scratch_store_b128 off, v[213:216], off offset:292 ; 16-byte Folded Spill
	s_wait_loadcnt 0x24
	scratch_store_b128 off, v[189:192], off offset:196 ; 16-byte Folded Spill
	s_wait_loadcnt 0x23
	scratch_store_b128 off, v[185:188], off offset:180 ; 16-byte Folded Spill
	s_wait_loadcnt 0x22
	scratch_store_b128 off, v[149:152], off offset:36 ; 16-byte Folded Spill
	s_wait_loadcnt 0x21
	scratch_store_b128 off, v[157:160], off offset:68 ; 16-byte Folded Spill
	s_wait_loadcnt 0x1f
	s_clause 0x1
	scratch_store_b128 off, v[161:164], off offset:84
	scratch_store_b128 off, v[153:156], off offset:52
	s_wait_loadcnt 0x1e
	scratch_store_b128 off, v[165:168], off offset:100 ; 16-byte Folded Spill
	s_wait_loadcnt 0x1d
	scratch_store_b128 off, v[169:172], off offset:116 ; 16-byte Folded Spill
	s_wait_loadcnt 0x1b
	s_clause 0x1
	scratch_store_b128 off, v[177:180], off offset:148
	scratch_store_b128 off, v[173:176], off offset:132
	s_wait_loadcnt 0x1a
	scratch_store_b128 off, v[181:184], off offset:164 ; 16-byte Folded Spill
	s_wait_loadcnt 0x19
	v_mul_f64_e32 v[99:100], v[5:6], v[223:224]
	v_mul_f64_e32 v[101:102], v[3:4], v[223:224]
	s_wait_loadcnt 0x18
	v_mul_f64_e32 v[103:104], v[9:10], v[231:232]
	v_mul_f64_e32 v[105:106], v[7:8], v[231:232]
	s_wait_loadcnt 0x17
	v_mul_f64_e32 v[109:110], v[13:14], v[235:236]
	s_wait_loadcnt 0x16
	v_mul_f64_e32 v[113:114], v[17:18], v[203:204]
	v_mul_f64_e32 v[115:116], v[15:16], v[203:204]
	;; [unrolled: 1-line block ×3, first 2 shown]
	s_wait_loadcnt 0x15
	v_mul_f64_e32 v[117:118], v[21:22], v[227:228]
	v_mul_f64_e32 v[119:120], v[19:20], v[227:228]
	s_wait_loadcnt 0x14
	v_mul_f64_e32 v[121:122], v[25:26], v[239:240]
	v_mul_f64_e32 v[123:124], v[23:24], v[239:240]
	;; [unrolled: 3-line block ×5, first 2 shown]
	v_fma_f64 v[3:4], v[3:4], v[221:222], v[99:100]
	v_fma_f64 v[5:6], v[5:6], v[221:222], -v[101:102]
	v_fma_f64 v[7:8], v[7:8], v[229:230], v[103:104]
	s_wait_loadcnt 0x10
	v_mul_f64_e32 v[139:140], v[39:40], v[195:196]
	v_mul_f64_e32 v[137:138], v[41:42], v[195:196]
	v_fma_f64 v[9:10], v[9:10], v[229:230], -v[105:106]
	s_wait_loadcnt 0xf
	v_mul_f64_e32 v[141:142], v[45:46], v[199:200]
	v_mul_f64_e32 v[143:144], v[43:44], v[199:200]
	v_fma_f64 v[11:12], v[11:12], v[233:234], v[109:110]
	v_fma_f64 v[15:16], v[15:16], v[201:202], v[113:114]
	v_fma_f64 v[17:18], v[17:18], v[201:202], -v[115:116]
	s_wait_loadcnt 0xe
	v_mul_f64_e32 v[145:146], v[49:50], v[191:192]
	v_mul_f64_e32 v[147:148], v[47:48], v[191:192]
	v_fma_f64 v[13:14], v[13:14], v[233:234], -v[111:112]
	v_fma_f64 v[19:20], v[19:20], v[225:226], v[117:118]
	v_fma_f64 v[21:22], v[21:22], v[225:226], -v[119:120]
	s_wait_loadcnt 0xd
	v_mul_f64_e32 v[99:100], v[53:54], v[187:188]
	v_mul_f64_e32 v[101:102], v[51:52], v[187:188]
	v_fma_f64 v[23:24], v[23:24], v[237:238], v[121:122]
	v_fma_f64 v[25:26], v[25:26], v[237:238], -v[123:124]
	s_wait_loadcnt 0xc
	v_mul_f64_e32 v[103:104], v[57:58], v[159:160]
	v_mul_f64_e32 v[105:106], v[55:56], v[159:160]
	;; [unrolled: 5-line block ×5, first 2 shown]
	v_fma_f64 v[41:42], v[41:42], v[193:194], -v[139:140]
	v_fma_f64 v[39:40], v[39:40], v[193:194], v[137:138]
	s_wait_loadcnt 0x8
	v_mul_f64_e32 v[121:122], v[73:74], v[167:168]
	v_mul_f64_e32 v[123:124], v[71:72], v[167:168]
	v_fma_f64 v[43:44], v[43:44], v[197:198], v[141:142]
	v_fma_f64 v[45:46], v[45:46], v[197:198], -v[143:144]
	s_wait_loadcnt 0x7
	v_mul_f64_e32 v[125:126], v[77:78], v[179:180]
	v_mul_f64_e32 v[127:128], v[75:76], v[179:180]
	v_fma_f64 v[47:48], v[47:48], v[189:190], v[145:146]
	v_fma_f64 v[49:50], v[49:50], v[189:190], -v[147:148]
	;; [unrolled: 5-line block ×3, first 2 shown]
	s_wait_loadcnt 0x5
	v_mul_f64_e32 v[133:134], v[85:86], v[175:176]
	v_mul_f64_e32 v[139:140], v[83:84], v[175:176]
	v_add_co_u32 v99, s12, s16, v108
	v_fma_f64 v[55:56], v[55:56], v[157:158], v[103:104]
	s_wait_loadcnt 0x4
	v_mul_f64_e32 v[135:136], v[89:90], v[183:184]
	v_mul_f64_e32 v[137:138], v[87:88], v[183:184]
	v_fma_f64 v[57:58], v[57:58], v[157:158], -v[105:106]
	s_wait_loadcnt 0x2
	v_mul_f64_e32 v[141:142], v[93:94], v[211:212]
	v_mul_f64_e32 v[143:144], v[91:92], v[211:212]
	s_wait_loadcnt 0x0
	v_mul_f64_e32 v[145:146], v[97:98], v[219:220]
	v_mul_f64_e32 v[147:148], v[95:96], v[219:220]
	v_fma_f64 v[59:60], v[59:60], v[161:162], v[109:110]
	v_fma_f64 v[63:64], v[63:64], v[149:150], v[113:114]
	v_fma_f64 v[65:66], v[65:66], v[149:150], -v[115:116]
	v_fma_f64 v[61:62], v[61:62], v[161:162], -v[111:112]
	s_clause 0x1
	scratch_store_b128 off, v[209:212], off offset:276
	scratch_store_b128 off, v[217:220], off offset:308
	v_fma_f64 v[67:68], v[67:68], v[153:154], v[117:118]
	v_fma_f64 v[69:70], v[69:70], v[153:154], -v[119:120]
	s_load_b64 s[8:9], s[0:1], 0x38
	s_load_b128 s[4:7], s[6:7], 0x0
	v_add_co_ci_u32_e64 v100, null, s17, 0, s12
	v_fma_f64 v[71:72], v[71:72], v[165:166], v[121:122]
	v_fma_f64 v[73:74], v[73:74], v[165:166], -v[123:124]
	scratch_store_b64 off, v[99:100], off offset:4 ; 8-byte Folded Spill
	v_fma_f64 v[75:76], v[75:76], v[177:178], v[125:126]
	v_fma_f64 v[77:78], v[77:78], v[177:178], -v[127:128]
	v_fma_f64 v[79:80], v[79:80], v[169:170], v[129:130]
	v_fma_f64 v[81:82], v[81:82], v[169:170], -v[131:132]
	;; [unrolled: 2-line block ×4, first 2 shown]
	ds_store_b128 v108, v[3:6]
	ds_store_b128 v108, v[15:18] offset:1008
	ds_store_b128 v108, v[7:10] offset:8400
	;; [unrolled: 1-line block ×19, first 2 shown]
	v_fma_f64 v[91:92], v[91:92], v[209:210], v[141:142]
	v_fma_f64 v[93:94], v[93:94], v[209:210], -v[143:144]
	v_fma_f64 v[95:96], v[95:96], v[217:218], v[145:146]
	v_fma_f64 v[97:98], v[97:98], v[217:218], -v[147:148]
	ds_store_b128 v108, v[79:82] offset:14448
	ds_store_b128 v108, v[91:94] offset:15456
	;; [unrolled: 1-line block ×4, first 2 shown]
	s_and_saveexec_b32 s12, vcc_lo
	s_cbranch_execz .LBB0_3
; %bb.2:
	scratch_load_b64 v[16:17], off, off offset:4 ; 8-byte Folded Reload
	v_add_co_u32 v0, s2, v0, s2
	s_wait_alu 0xf1ff
	v_add_co_ci_u32_e64 v1, s2, s3, v1, s2
	s_delay_alu instid0(VALU_DEP_2) | instskip(SKIP_1) | instid1(VALU_DEP_2)
	v_add_co_u32 v8, s2, v0, s10
	s_wait_alu 0xf1ff
	v_add_co_ci_u32_e64 v9, s2, s11, v1, s2
	global_load_b128 v[0:3], v[0:1], off
	v_add_co_u32 v20, s2, v8, s10
	s_wait_alu 0xf1ff
	v_add_co_ci_u32_e64 v21, s2, s11, v9, s2
	s_wait_loadcnt 0x1
	global_load_b128 v[4:7], v[16:17], off offset:8064
	global_load_b128 v[8:11], v[8:9], off
	s_clause 0x1
	global_load_b128 v[12:15], v[16:17], off offset:16464
	global_load_b128 v[16:19], v[16:17], off offset:24864
	global_load_b128 v[20:23], v[20:21], off
	s_wait_loadcnt 0x4
	v_mul_f64_e32 v[24:25], v[2:3], v[6:7]
	v_mul_f64_e32 v[6:7], v[0:1], v[6:7]
	s_wait_loadcnt 0x2
	v_mul_f64_e32 v[26:27], v[10:11], v[14:15]
	v_mul_f64_e32 v[14:15], v[8:9], v[14:15]
	;; [unrolled: 3-line block ×3, first 2 shown]
	v_fma_f64 v[0:1], v[0:1], v[4:5], v[24:25]
	v_fma_f64 v[2:3], v[2:3], v[4:5], -v[6:7]
	v_fma_f64 v[4:5], v[8:9], v[12:13], v[26:27]
	v_fma_f64 v[6:7], v[10:11], v[12:13], -v[14:15]
	;; [unrolled: 2-line block ×3, first 2 shown]
	ds_store_b128 v108, v[0:3] offset:8064
	ds_store_b128 v108, v[4:7] offset:16464
	;; [unrolled: 1-line block ×3, first 2 shown]
.LBB0_3:
	s_wait_alu 0xfffe
	s_or_b32 exec_lo, exec_lo, s12
	global_wb scope:SCOPE_SE
	s_wait_storecnt_dscnt 0x0
	s_wait_kmcnt 0x0
	s_barrier_signal -1
	s_barrier_wait -1
	global_inv scope:SCOPE_SE
	ds_load_b128 v[96:99], v108
	ds_load_b128 v[92:95], v108 offset:1008
	ds_load_b128 v[104:107], v108 offset:8400
	;; [unrolled: 1-line block ×23, first 2 shown]
                                        ; implicit-def: $vgpr28_vgpr29
                                        ; implicit-def: $vgpr76_vgpr77
                                        ; implicit-def: $vgpr20_vgpr21
	s_and_saveexec_b32 s2, vcc_lo
	s_cbranch_execz .LBB0_5
; %bb.4:
	ds_load_b128 v[28:31], v108 offset:8064
	ds_load_b128 v[76:79], v108 offset:16464
	;; [unrolled: 1-line block ×3, first 2 shown]
.LBB0_5:
	s_wait_alu 0xfffe
	s_or_b32 exec_lo, exec_lo, s2
	scratch_load_b32 v167, off, off         ; 4-byte Folded Reload
	s_wait_dscnt 0x13
	v_add_f64_e32 v[115:116], v[106:107], v[90:91]
	s_wait_dscnt 0x12
	v_add_f64_e32 v[117:118], v[100:101], v[84:85]
	v_add_f64_e32 v[119:120], v[102:103], v[86:87]
	v_add_f64_e32 v[112:113], v[104:105], v[88:89]
	s_wait_dscnt 0xd
	v_add_f64_e32 v[121:122], v[80:81], v[24:25]
	v_add_f64_e64 v[125:126], v[106:107], -v[90:91]
	v_add_f64_e32 v[106:107], v[98:99], v[106:107]
	v_add_f64_e32 v[127:128], v[92:93], v[100:101]
	v_add_f64_e64 v[129:130], v[102:103], -v[86:87]
	v_add_f64_e32 v[102:103], v[94:95], v[102:103]
	v_add_f64_e64 v[131:132], v[100:101], -v[84:85]
	s_load_b64 s[2:3], s[0:1], 0x8
	v_add_f64_e32 v[133:134], v[72:73], v[80:81]
	v_add_f64_e32 v[137:138], v[82:83], v[26:27]
	s_wait_dscnt 0xc
	v_add_f64_e32 v[139:140], v[64:65], v[12:13]
	v_add_f64_e32 v[141:142], v[66:67], v[14:15]
	v_add_f64_e64 v[135:136], v[82:83], -v[26:27]
	s_wait_dscnt 0x7
	v_add_f64_e32 v[143:144], v[68:69], v[16:17]
	v_add_f64_e32 v[145:146], v[70:71], v[18:19]
	s_wait_dscnt 0x6
	v_add_f64_e32 v[149:150], v[48:49], v[4:5]
	v_add_f64_e32 v[151:152], v[50:51], v[6:7]
	s_mov_b32 s11, 0xbfebb67a
	v_add_f64_e32 v[147:148], v[74:75], v[82:83]
	s_wait_dscnt 0x1
	v_add_f64_e32 v[153:154], v[52:53], v[8:9]
	v_add_f64_e32 v[155:156], v[54:55], v[10:11]
	s_wait_dscnt 0x0
	v_add_f64_e32 v[157:158], v[36:37], v[0:1]
	v_add_f64_e32 v[159:160], v[38:39], v[2:3]
	v_add_f64_e64 v[161:162], v[38:39], -v[2:3]
	v_add_f64_e64 v[165:166], v[36:37], -v[0:1]
	v_add_f64_e32 v[163:164], v[34:35], v[38:39]
	global_wb scope:SCOPE_SE
	s_wait_loadcnt 0x0
	s_wait_kmcnt 0x0
	s_barrier_signal -1
	s_barrier_wait -1
	global_inv scope:SCOPE_SE
	v_fma_f64 v[98:99], v[115:116], -0.5, v[98:99]
	v_fma_f64 v[116:117], v[117:118], -0.5, v[92:93]
	;; [unrolled: 1-line block ×4, first 2 shown]
	v_add_f64_e32 v[90:91], v[106:107], v[90:91]
	v_add_f64_e32 v[82:83], v[127:128], v[84:85]
	;; [unrolled: 1-line block ×4, first 2 shown]
	v_fma_f64 v[157:158], v[157:158], -0.5, v[32:33]
	v_fma_f64 v[159:160], v[159:160], -0.5, v[34:35]
	v_add_f64_e32 v[2:3], v[163:164], v[2:3]
	v_add_co_u32 v109, s0, v167, 63
	s_wait_alu 0xf1ff
	v_add_co_ci_u32_e64 v110, null, 0, 0, s0
	v_add_co_u32 v110, s0, 0x7e, v167
	s_wait_alu 0xf1ff
	v_add_co_ci_u32_e64 v111, null, 0, 0, s0
	;; [unrolled: 3-line block ×4, first 2 shown]
	v_add_f64_e32 v[123:124], v[96:97], v[104:105]
	v_fma_f64 v[96:97], v[112:113], -0.5, v[96:97]
	v_add_co_u32 v113, s0, 0x17a, v167
	v_add_f64_e64 v[104:105], v[104:105], -v[88:89]
	s_wait_alu 0xf1ff
	v_add_co_ci_u32_e64 v72, null, 0, 0, s0
	v_add_co_u32 v115, s0, 0x1b9, v167
	s_wait_alu 0xf1ff
	v_add_co_ci_u32_e64 v72, null, 0, 0, s0
	s_mov_b32 s0, 0xe8584caa
	s_mov_b32 s1, 0x3febb67a
	s_wait_alu 0xfffe
	s_mov_b32 s10, s0
	v_fma_f64 v[106:107], v[131:132], s[0:1], v[118:119]
	s_wait_alu 0xfffe
	v_fma_f64 v[102:103], v[131:132], s[10:11], v[118:119]
	v_add_f64_e32 v[118:119], v[78:79], v[22:23]
	v_add_f64_e32 v[72:73], v[133:134], v[24:25]
	v_add_f64_e64 v[24:25], v[80:81], -v[24:25]
	v_add_f64_e32 v[80:81], v[60:61], v[64:65]
	v_fma_f64 v[60:61], v[139:140], -0.5, v[60:61]
	v_add_f64_e64 v[64:65], v[64:65], -v[12:13]
	v_fma_f64 v[100:101], v[129:130], s[0:1], v[116:117]
	v_fma_f64 v[132:133], v[149:150], -0.5, v[44:45]
	v_add_f64_e32 v[149:150], v[42:43], v[54:55]
	v_add_co_u32 v111, null, 0xbd, v167
	v_add_co_u32 v112, null, 0x1f8, v167
	v_add_f64_e32 v[88:89], v[123:124], v[88:89]
	v_fma_f64 v[122:123], v[137:138], -0.5, v[74:75]
	v_fma_f64 v[92:93], v[125:126], s[0:1], v[96:97]
	v_fma_f64 v[96:97], v[125:126], s[10:11], v[96:97]
	v_add_f64_e64 v[124:125], v[66:67], -v[14:15]
	v_add_f64_e32 v[66:67], v[62:63], v[66:67]
	v_fma_f64 v[62:63], v[141:142], -0.5, v[62:63]
	v_fma_f64 v[94:95], v[104:105], s[10:11], v[98:99]
	v_fma_f64 v[98:99], v[104:105], s[0:1], v[98:99]
	;; [unrolled: 1-line block ×5, first 2 shown]
	v_add_f64_e32 v[126:127], v[56:57], v[68:69]
	v_fma_f64 v[56:57], v[143:144], -0.5, v[56:57]
	v_add_f64_e64 v[128:129], v[70:71], -v[18:19]
	v_add_f64_e32 v[70:71], v[58:59], v[70:71]
	v_fma_f64 v[58:59], v[145:146], -0.5, v[58:59]
	v_add_f64_e64 v[68:69], v[68:69], -v[16:17]
	v_add_f64_e32 v[130:131], v[44:45], v[48:49]
	v_add_f64_e64 v[134:135], v[50:51], -v[6:7]
	v_add_f64_e32 v[50:51], v[46:47], v[50:51]
	v_fma_f64 v[136:137], v[151:152], -0.5, v[46:47]
	v_add_f64_e64 v[138:139], v[48:49], -v[4:5]
	v_add_f64_e32 v[140:141], v[40:41], v[52:53]
	v_fma_f64 v[142:143], v[153:154], -0.5, v[40:41]
	v_add_f64_e64 v[144:145], v[54:55], -v[10:11]
	v_fma_f64 v[151:152], v[155:156], -0.5, v[42:43]
	v_add_f64_e64 v[153:154], v[52:53], -v[8:9]
	v_add_f64_e32 v[74:75], v[147:148], v[26:27]
	v_add_f64_e32 v[146:147], v[28:29], v[76:77]
	v_fma_f64 v[28:29], v[86:87], -0.5, v[28:29]
	v_add_f64_e64 v[86:87], v[78:79], -v[22:23]
	v_add_f64_e32 v[78:79], v[30:31], v[78:79]
	v_fma_f64 v[30:31], v[118:119], -0.5, v[30:31]
	v_add_f64_e64 v[76:77], v[76:77], -v[20:21]
	v_add_f64_e32 v[155:156], v[32:33], v[36:37]
	v_add_f64_e32 v[12:13], v[80:81], v[12:13]
	;; [unrolled: 1-line block ×3, first 2 shown]
	v_mul_lo_u16 v80, v167, 3
	v_fma_f64 v[118:119], v[24:25], s[10:11], v[122:123]
	v_fma_f64 v[122:123], v[24:25], s[0:1], v[122:123]
	;; [unrolled: 1-line block ×3, first 2 shown]
	v_add_f64_e32 v[14:15], v[66:67], v[14:15]
	v_fma_f64 v[26:27], v[64:65], s[10:11], v[62:63]
	v_fma_f64 v[32:33], v[124:125], s[10:11], v[60:61]
	v_fma_f64 v[34:35], v[64:65], s[0:1], v[62:63]
	v_fma_f64 v[64:65], v[161:162], s[0:1], v[157:158]
	v_fma_f64 v[66:67], v[165:166], s[10:11], v[159:160]
	v_add_f64_e32 v[36:37], v[126:127], v[16:17]
	v_fma_f64 v[44:45], v[128:129], s[10:11], v[56:57]
	v_add_f64_e32 v[38:39], v[70:71], v[18:19]
	v_fma_f64 v[40:41], v[128:129], s[0:1], v[56:57]
	v_fma_f64 v[46:47], v[68:69], s[0:1], v[58:59]
	v_add_f64_e32 v[4:5], v[130:131], v[4:5]
	v_fma_f64 v[42:43], v[68:69], s[10:11], v[58:59]
	v_add_f64_e32 v[6:7], v[50:51], v[6:7]
	v_fma_f64 v[48:49], v[134:135], s[0:1], v[132:133]
	v_fma_f64 v[50:51], v[138:139], s[10:11], v[136:137]
	;; [unrolled: 1-line block ×4, first 2 shown]
	v_add_f64_e32 v[8:9], v[140:141], v[8:9]
	v_fma_f64 v[60:61], v[144:145], s[10:11], v[142:143]
	v_fma_f64 v[62:63], v[153:154], s[0:1], v[151:152]
	;; [unrolled: 1-line block ×4, first 2 shown]
	v_add_f64_e32 v[16:17], v[146:147], v[20:21]
	v_fma_f64 v[20:21], v[86:87], s[0:1], v[28:29]
	v_fma_f64 v[28:29], v[86:87], s[10:11], v[28:29]
	v_add_f64_e32 v[18:19], v[78:79], v[22:23]
	v_fma_f64 v[22:23], v[76:77], s[10:11], v[30:31]
	v_fma_f64 v[30:31], v[76:77], s[0:1], v[30:31]
	;; [unrolled: 1-line block ×4, first 2 shown]
	v_add_f64_e32 v[0:1], v[155:156], v[0:1]
	v_and_b32_e32 v78, 0xffff, v80
	v_mul_u32_u24_e32 v76, 3, v109
	s_delay_alu instid0(VALU_DEP_2) | instskip(NEXT) | instid1(VALU_DEP_2)
	v_lshlrev_b32_e32 v77, 4, v78
	v_lshlrev_b32_e32 v78, 4, v76
	v_mul_u32_u24_e32 v76, 3, v110
	ds_store_b128 v77, v[88:91]
	ds_store_b128 v77, v[92:95] offset:16
	scratch_store_b32 off, v77, off offset:572 ; 4-byte Folded Spill
	ds_store_b128 v77, v[96:99] offset:32
	v_mul_u32_u24_e32 v77, 3, v111
	v_lshlrev_b32_e32 v79, 4, v76
	ds_store_b128 v78, v[82:85]
	ds_store_b128 v78, v[100:103] offset:16
	scratch_store_b32 off, v78, off offset:548 ; 4-byte Folded Spill
	ds_store_b128 v78, v[104:107] offset:32
	v_lshlrev_b32_e32 v77, 4, v77
	v_mul_u32_u24_e32 v76, 3, v168
	ds_store_b128 v79, v[72:75]
	ds_store_b128 v79, v[116:119] offset:16
	v_mul_u32_u24_e32 v72, 3, v114
	scratch_store_b32 off, v79, off offset:576 ; 4-byte Folded Spill
	ds_store_b128 v79, v[120:123] offset:32
	v_lshlrev_b32_e32 v73, 4, v76
	ds_store_b128 v77, v[12:15]
	ds_store_b128 v77, v[24:27] offset:16
	v_lshlrev_b32_e32 v14, 4, v72
	v_mul_u32_u24_e32 v12, 3, v113
	v_mul_u32_u24_e32 v13, 3, v115
	scratch_store_b32 off, v77, off offset:568 ; 4-byte Folded Spill
	ds_store_b128 v77, v[32:35] offset:32
	ds_store_b128 v73, v[36:39]
	ds_store_b128 v73, v[40:43] offset:16
	scratch_store_b32 off, v73, off offset:584 ; 4-byte Folded Spill
	ds_store_b128 v73, v[44:47] offset:32
	v_lshlrev_b32_e32 v12, 4, v12
	ds_store_b128 v14, v[4:7]
	ds_store_b128 v14, v[48:51] offset:16
	v_lshlrev_b32_e32 v4, 4, v13
	v_mul_u32_u24_e32 v5, 3, v112
	scratch_store_b32 off, v14, off offset:580 ; 4-byte Folded Spill
	ds_store_b128 v14, v[52:55] offset:32
	ds_store_b128 v12, v[8:11]
	ds_store_b128 v12, v[56:59] offset:16
	s_clause 0x1
	scratch_store_b32 off, v5, off offset:1392
	scratch_store_b32 off, v12, off offset:592
	ds_store_b128 v12, v[60:63] offset:32
	ds_store_b128 v4, v[0:3]
	ds_store_b128 v4, v[64:67] offset:16
	scratch_store_b32 off, v4, off offset:588 ; 4-byte Folded Spill
	ds_store_b128 v4, v[68:71] offset:32
	s_and_saveexec_b32 s0, vcc_lo
	s_cbranch_execz .LBB0_7
; %bb.6:
	v_mul_u32_u24_e32 v0, 3, v112
	s_delay_alu instid0(VALU_DEP_1)
	v_lshlrev_b32_e32 v0, 4, v0
	ds_store_b128 v0, v[16:19]
	ds_store_b128 v0, v[20:23] offset:16
	ds_store_b128 v0, v[28:31] offset:32
.LBB0_7:
	s_wait_alu 0xfffe
	s_or_b32 exec_lo, exec_lo, s0
	global_wb scope:SCOPE_SE
	s_wait_storecnt_dscnt 0x0
	s_barrier_signal -1
	s_barrier_wait -1
	global_inv scope:SCOPE_SE
	ds_load_b128 v[56:59], v108
	ds_load_b128 v[52:55], v108 offset:1008
	ds_load_b128 v[104:107], v108 offset:8400
	;; [unrolled: 1-line block ×23, first 2 shown]
	s_and_saveexec_b32 s0, vcc_lo
	s_cbranch_execz .LBB0_9
; %bb.8:
	ds_load_b128 v[16:19], v108 offset:8064
	ds_load_b128 v[20:23], v108 offset:16464
	;; [unrolled: 1-line block ×3, first 2 shown]
.LBB0_9:
	s_wait_alu 0xfffe
	s_or_b32 exec_lo, exec_lo, s0
	scratch_load_b32 v119, off, off         ; 4-byte Folded Reload
	v_and_b32_e32 v185, 0xff, v109
	v_and_b32_e32 v184, 0xff, v110
	;; [unrolled: 1-line block ×3, first 2 shown]
	s_mov_b32 s0, 0xe8584caa
	s_mov_b32 s1, 0x3febb67a
	s_wait_alu 0xfffe
	s_mov_b32 s10, s0
	s_wait_loadcnt 0x0
	v_and_b32_e32 v116, 0xff, v119
	s_delay_alu instid0(VALU_DEP_1) | instskip(NEXT) | instid1(VALU_DEP_1)
	v_mul_lo_u16 v117, 0xab, v116
	v_lshrrev_b16 v117, 9, v117
	s_delay_alu instid0(VALU_DEP_1) | instskip(NEXT) | instid1(VALU_DEP_1)
	v_mul_lo_u16 v118, v117, 3
	v_sub_nc_u16 v118, v119, v118
	s_delay_alu instid0(VALU_DEP_1) | instskip(NEXT) | instid1(VALU_DEP_1)
	v_and_b32_e32 v118, 0xff, v118
	v_lshlrev_b32_e32 v119, 5, v118
	s_clause 0x1
	global_load_b128 v[121:124], v119, s[2:3]
	global_load_b128 v[125:128], v119, s[2:3] offset:16
	s_wait_loadcnt_dscnt 0x115
	v_mul_f64_e32 v[119:120], v[106:107], v[123:124]
	scratch_store_b128 off, v[121:124], off offset:596 ; 16-byte Folded Spill
	s_wait_loadcnt 0x0
	scratch_store_b128 off, v[125:128], off offset:828 ; 16-byte Folded Spill
	v_fma_f64 v[119:120], v[104:105], v[121:122], -v[119:120]
	v_mul_f64_e32 v[104:105], v[104:105], v[123:124]
	s_delay_alu instid0(VALU_DEP_1) | instskip(SKIP_2) | instid1(VALU_DEP_1)
	v_fma_f64 v[104:105], v[106:107], v[121:122], v[104:105]
	s_wait_dscnt 0x13
	v_mul_f64_e32 v[106:107], v[102:103], v[127:128]
	v_fma_f64 v[106:107], v[100:101], v[125:126], -v[106:107]
	v_mul_f64_e32 v[100:101], v[100:101], v[127:128]
	s_delay_alu instid0(VALU_DEP_1) | instskip(SKIP_1) | instid1(VALU_DEP_1)
	v_fma_f64 v[100:101], v[102:103], v[125:126], v[100:101]
	v_mul_lo_u16 v102, 0xab, v185
	v_lshrrev_b16 v147, 9, v102
	s_delay_alu instid0(VALU_DEP_1) | instskip(NEXT) | instid1(VALU_DEP_1)
	v_mul_lo_u16 v102, v147, 3
	v_sub_nc_u16 v102, v109, v102
	s_delay_alu instid0(VALU_DEP_1) | instskip(NEXT) | instid1(VALU_DEP_1)
	v_and_b32_e32 v148, 0xff, v102
	v_lshlrev_b32_e32 v102, 5, v148
	s_clause 0x1
	global_load_b128 v[121:124], v102, s[2:3]
	global_load_b128 v[125:128], v102, s[2:3] offset:16
	s_wait_loadcnt 0x1
	v_mul_f64_e32 v[102:103], v[98:99], v[123:124]
	scratch_store_b128 off, v[121:124], off offset:844 ; 16-byte Folded Spill
	s_wait_loadcnt 0x0
	scratch_store_b128 off, v[125:128], off offset:860 ; 16-byte Folded Spill
	v_fma_f64 v[102:103], v[96:97], v[121:122], -v[102:103]
	v_mul_f64_e32 v[96:97], v[96:97], v[123:124]
	s_delay_alu instid0(VALU_DEP_1) | instskip(SKIP_2) | instid1(VALU_DEP_1)
	v_fma_f64 v[96:97], v[98:99], v[121:122], v[96:97]
	s_wait_dscnt 0x12
	v_mul_f64_e32 v[98:99], v[94:95], v[127:128]
	v_fma_f64 v[98:99], v[92:93], v[125:126], -v[98:99]
	v_mul_f64_e32 v[92:93], v[92:93], v[127:128]
	s_delay_alu instid0(VALU_DEP_1) | instskip(SKIP_1) | instid1(VALU_DEP_1)
	v_fma_f64 v[92:93], v[94:95], v[125:126], v[92:93]
	v_mul_lo_u16 v94, 0xab, v184
	v_lshrrev_b16 v149, 9, v94
	s_delay_alu instid0(VALU_DEP_1) | instskip(NEXT) | instid1(VALU_DEP_1)
	v_mul_lo_u16 v94, v149, 3
	v_sub_nc_u16 v94, v110, v94
	s_delay_alu instid0(VALU_DEP_1) | instskip(NEXT) | instid1(VALU_DEP_1)
	v_and_b32_e32 v150, 0xff, v94
	v_lshlrev_b32_e32 v94, 5, v150
	s_clause 0x1
	global_load_b128 v[121:124], v94, s[2:3]
	global_load_b128 v[125:128], v94, s[2:3] offset:16
	s_wait_loadcnt_dscnt 0x10f
	v_mul_f64_e32 v[94:95], v[90:91], v[123:124]
	scratch_store_b128 off, v[121:124], off offset:892 ; 16-byte Folded Spill
	s_wait_loadcnt 0x0
	scratch_store_b128 off, v[125:128], off offset:908 ; 16-byte Folded Spill
	v_fma_f64 v[94:95], v[88:89], v[121:122], -v[94:95]
	v_mul_f64_e32 v[88:89], v[88:89], v[123:124]
	s_delay_alu instid0(VALU_DEP_1) | instskip(SKIP_2) | instid1(VALU_DEP_1)
	v_fma_f64 v[88:89], v[90:91], v[121:122], v[88:89]
	s_wait_dscnt 0xd
	v_mul_f64_e32 v[90:91], v[86:87], v[127:128]
	v_fma_f64 v[90:91], v[84:85], v[125:126], -v[90:91]
	v_mul_f64_e32 v[84:85], v[84:85], v[127:128]
	s_delay_alu instid0(VALU_DEP_1) | instskip(SKIP_1) | instid1(VALU_DEP_1)
	v_fma_f64 v[84:85], v[86:87], v[125:126], v[84:85]
	v_mul_lo_u16 v86, 0xab, v228
	v_lshrrev_b16 v151, 9, v86
	s_delay_alu instid0(VALU_DEP_1) | instskip(NEXT) | instid1(VALU_DEP_1)
	v_mul_lo_u16 v86, v151, 3
	v_sub_nc_u16 v86, v111, v86
	s_delay_alu instid0(VALU_DEP_1) | instskip(NEXT) | instid1(VALU_DEP_1)
	v_and_b32_e32 v152, 0xff, v86
	v_lshlrev_b32_e32 v86, 5, v152
	s_clause 0x1
	global_load_b128 v[121:124], v86, s[2:3]
	global_load_b128 v[125:128], v86, s[2:3] offset:16
	s_wait_loadcnt 0x1
	v_mul_f64_e32 v[86:87], v[82:83], v[123:124]
	scratch_store_b128 off, v[121:124], off offset:876 ; 16-byte Folded Spill
	s_wait_loadcnt 0x0
	scratch_store_b128 off, v[125:128], off offset:924 ; 16-byte Folded Spill
	v_fma_f64 v[86:87], v[80:81], v[121:122], -v[86:87]
	v_mul_f64_e32 v[80:81], v[80:81], v[123:124]
	s_delay_alu instid0(VALU_DEP_1) | instskip(SKIP_2) | instid1(VALU_DEP_1)
	v_fma_f64 v[80:81], v[82:83], v[121:122], v[80:81]
	s_wait_dscnt 0xc
	v_mul_f64_e32 v[82:83], v[78:79], v[127:128]
	v_fma_f64 v[82:83], v[76:77], v[125:126], -v[82:83]
	v_mul_f64_e32 v[76:77], v[76:77], v[127:128]
	s_delay_alu instid0(VALU_DEP_1) | instskip(SKIP_1) | instid1(VALU_DEP_1)
	v_fma_f64 v[77:78], v[78:79], v[125:126], v[76:77]
	v_and_b32_e32 v76, 0xffff, v168
	v_mul_u32_u24_e32 v79, 0xaaab, v76
	s_delay_alu instid0(VALU_DEP_1) | instskip(NEXT) | instid1(VALU_DEP_1)
	v_lshrrev_b32_e32 v153, 17, v79
	v_mul_lo_u16 v79, v153, 3
	s_delay_alu instid0(VALU_DEP_1) | instskip(NEXT) | instid1(VALU_DEP_1)
	v_sub_nc_u16 v154, v168, v79
	v_lshlrev_b16 v79, 1, v154
	s_delay_alu instid0(VALU_DEP_1) | instskip(NEXT) | instid1(VALU_DEP_1)
	v_and_b32_e32 v79, 0xffff, v79
	v_lshlrev_b32_e32 v79, 4, v79
	s_clause 0x1
	global_load_b128 v[123:126], v79, s[2:3]
	global_load_b128 v[127:130], v79, s[2:3] offset:16
	s_wait_loadcnt_dscnt 0x109
	v_mul_f64_e32 v[121:122], v[74:75], v[125:126]
	scratch_store_b128 off, v[123:126], off offset:940 ; 16-byte Folded Spill
	s_wait_loadcnt 0x0
	scratch_store_b128 off, v[127:130], off offset:956 ; 16-byte Folded Spill
	v_fma_f64 v[121:122], v[72:73], v[123:124], -v[121:122]
	v_mul_f64_e32 v[72:73], v[72:73], v[125:126]
	s_delay_alu instid0(VALU_DEP_1) | instskip(SKIP_2) | instid1(VALU_DEP_1)
	v_fma_f64 v[123:124], v[74:75], v[123:124], v[72:73]
	s_wait_dscnt 0x7
	v_mul_f64_e32 v[72:73], v[70:71], v[129:130]
	v_fma_f64 v[125:126], v[68:69], v[127:128], -v[72:73]
	v_mul_f64_e32 v[68:69], v[68:69], v[129:130]
	s_delay_alu instid0(VALU_DEP_1) | instskip(SKIP_1) | instid1(VALU_DEP_1)
	v_fma_f64 v[127:128], v[70:71], v[127:128], v[68:69]
	v_and_b32_e32 v68, 0xffff, v114
	v_mul_u32_u24_e32 v68, 0xaaab, v68
	s_delay_alu instid0(VALU_DEP_1) | instskip(NEXT) | instid1(VALU_DEP_1)
	v_lshrrev_b32_e32 v155, 17, v68
	v_mul_lo_u16 v68, v155, 3
	s_delay_alu instid0(VALU_DEP_1) | instskip(NEXT) | instid1(VALU_DEP_1)
	v_sub_nc_u16 v156, v114, v68
	v_lshlrev_b16 v68, 1, v156
	s_delay_alu instid0(VALU_DEP_1) | instskip(NEXT) | instid1(VALU_DEP_1)
	v_and_b32_e32 v68, 0xffff, v68
	v_lshlrev_b32_e32 v68, 4, v68
	s_clause 0x1
	global_load_b128 v[70:73], v68, s[2:3]
	global_load_b128 v[135:138], v68, s[2:3] offset:16
	s_wait_loadcnt 0x1
	v_mul_f64_e32 v[68:69], v[10:11], v[72:73]
	scratch_store_b128 off, v[70:73], off offset:972 ; 16-byte Folded Spill
	s_wait_loadcnt 0x0
	scratch_store_b128 off, v[135:138], off offset:988 ; 16-byte Folded Spill
	v_fma_f64 v[129:130], v[8:9], v[70:71], -v[68:69]
	v_mul_f64_e32 v[8:9], v[8:9], v[72:73]
	v_add_f64_e64 v[72:73], v[94:95], -v[90:91]
	s_delay_alu instid0(VALU_DEP_2) | instskip(SKIP_2) | instid1(VALU_DEP_1)
	v_fma_f64 v[131:132], v[10:11], v[70:71], v[8:9]
	s_wait_dscnt 0x6
	v_mul_f64_e32 v[8:9], v[6:7], v[137:138]
	v_fma_f64 v[133:134], v[4:5], v[135:136], -v[8:9]
	v_mul_f64_e32 v[4:5], v[4:5], v[137:138]
	s_delay_alu instid0(VALU_DEP_1) | instskip(SKIP_1) | instid1(VALU_DEP_1)
	v_fma_f64 v[135:136], v[6:7], v[135:136], v[4:5]
	v_and_b32_e32 v4, 0xffff, v113
	v_mul_u32_u24_e32 v4, 0xaaab, v4
	s_delay_alu instid0(VALU_DEP_1) | instskip(NEXT) | instid1(VALU_DEP_1)
	v_lshrrev_b32_e32 v157, 17, v4
	v_mul_lo_u16 v4, v157, 3
	s_delay_alu instid0(VALU_DEP_1) | instskip(NEXT) | instid1(VALU_DEP_1)
	v_sub_nc_u16 v158, v113, v4
	v_lshlrev_b16 v4, 1, v158
	s_delay_alu instid0(VALU_DEP_1) | instskip(NEXT) | instid1(VALU_DEP_1)
	v_and_b32_e32 v4, 0xffff, v4
	v_lshlrev_b32_e32 v4, 4, v4
	s_clause 0x1
	global_load_b128 v[6:9], v4, s[2:3]
	global_load_b128 v[68:71], v4, s[2:3] offset:16
	s_wait_loadcnt_dscnt 0x103
	v_mul_f64_e32 v[4:5], v[66:67], v[8:9]
	scratch_store_b128 off, v[6:9], off offset:1052 ; 16-byte Folded Spill
	s_wait_loadcnt 0x0
	scratch_store_b128 off, v[68:71], off offset:1068 ; 16-byte Folded Spill
	v_fma_f64 v[113:114], v[64:65], v[6:7], -v[4:5]
	v_mul_f64_e32 v[4:5], v[64:65], v[8:9]
	s_delay_alu instid0(VALU_DEP_1) | instskip(SKIP_2) | instid1(VALU_DEP_1)
	v_fma_f64 v[64:65], v[66:67], v[6:7], v[4:5]
	s_wait_dscnt 0x1
	v_mul_f64_e32 v[4:5], v[14:15], v[70:71]
	v_fma_f64 v[66:67], v[12:13], v[68:69], -v[4:5]
	v_mul_f64_e32 v[4:5], v[12:13], v[70:71]
	s_delay_alu instid0(VALU_DEP_1) | instskip(SKIP_2) | instid1(VALU_DEP_2)
	v_fma_f64 v[137:138], v[14:15], v[68:69], v[4:5]
	v_and_b32_e32 v4, 0xffff, v115
	v_add_f64_e64 v[68:69], v[88:89], -v[84:85]
	v_mul_u32_u24_e32 v4, 0xaaab, v4
	s_delay_alu instid0(VALU_DEP_1) | instskip(NEXT) | instid1(VALU_DEP_1)
	v_lshrrev_b32_e32 v159, 17, v4
	v_mul_lo_u16 v4, v159, 3
	s_delay_alu instid0(VALU_DEP_1) | instskip(NEXT) | instid1(VALU_DEP_1)
	v_sub_nc_u16 v160, v115, v4
	v_lshlrev_b16 v4, 1, v160
	s_delay_alu instid0(VALU_DEP_1) | instskip(NEXT) | instid1(VALU_DEP_1)
	v_and_b32_e32 v4, 0xffff, v4
	v_lshlrev_b32_e32 v4, 4, v4
	s_clause 0x1
	global_load_b128 v[10:13], v4, s[2:3]
	global_load_b128 v[6:9], v4, s[2:3] offset:16
	s_wait_loadcnt 0x1
	v_mul_f64_e32 v[4:5], v[62:63], v[12:13]
	scratch_store_b128 off, v[10:13], off offset:1084 ; 16-byte Folded Spill
	s_wait_loadcnt 0x0
	scratch_store_b128 off, v[6:9], off offset:1004 ; 16-byte Folded Spill
	v_fma_f64 v[139:140], v[60:61], v[10:11], -v[4:5]
	v_mul_f64_e32 v[4:5], v[60:61], v[12:13]
	v_add_f64_e32 v[12:13], v[56:57], v[119:120]
	v_add_f64_e64 v[60:61], v[102:103], -v[98:99]
	s_delay_alu instid0(VALU_DEP_3) | instskip(SKIP_2) | instid1(VALU_DEP_1)
	v_fma_f64 v[141:142], v[62:63], v[10:11], v[4:5]
	s_wait_dscnt 0x0
	v_mul_f64_e32 v[4:5], v[2:3], v[8:9]
	v_fma_f64 v[143:144], v[0:1], v[6:7], -v[4:5]
	v_mul_f64_e32 v[0:1], v[0:1], v[8:9]
	s_delay_alu instid0(VALU_DEP_1) | instskip(SKIP_1) | instid1(VALU_DEP_1)
	v_fma_f64 v[145:146], v[2:3], v[6:7], v[0:1]
	v_and_b32_e32 v0, 0xffff, v112
	v_mul_u32_u24_e32 v0, 0xaaab, v0
	s_delay_alu instid0(VALU_DEP_1) | instskip(NEXT) | instid1(VALU_DEP_1)
	v_lshrrev_b32_e32 v161, 17, v0
	v_mul_lo_u16 v0, v161, 3
	s_delay_alu instid0(VALU_DEP_1) | instskip(NEXT) | instid1(VALU_DEP_1)
	v_sub_nc_u16 v162, v112, v0
	v_lshlrev_b16 v0, 1, v162
	s_delay_alu instid0(VALU_DEP_1) | instskip(NEXT) | instid1(VALU_DEP_1)
	v_and_b32_e32 v0, 0xffff, v0
	v_lshlrev_b32_e32 v0, 4, v0
	s_clause 0x1
	global_load_b128 v[4:7], v0, s[2:3]
	global_load_b128 v[8:11], v0, s[2:3] offset:16
	s_wait_loadcnt 0x1
	v_mul_f64_e32 v[0:1], v[22:23], v[6:7]
	v_mul_f64_e32 v[2:3], v[20:21], v[6:7]
	scratch_store_b128 off, v[4:7], off offset:1020 ; 16-byte Folded Spill
	s_wait_loadcnt 0x0
	scratch_store_b128 off, v[8:11], off offset:1036 ; 16-byte Folded Spill
	v_mul_f64_e32 v[6:7], v[28:29], v[10:11]
	global_wb scope:SCOPE_SE
	s_wait_storecnt 0x0
	s_barrier_signal -1
	s_barrier_wait -1
	global_inv scope:SCOPE_SE
	v_fma_f64 v[0:1], v[20:21], v[4:5], -v[0:1]
	v_fma_f64 v[4:5], v[22:23], v[4:5], v[2:3]
	v_mul_f64_e32 v[2:3], v[30:31], v[10:11]
	v_add_f64_e64 v[20:21], v[104:105], -v[100:101]
	v_fma_f64 v[6:7], v[30:31], v[8:9], v[6:7]
	s_delay_alu instid0(VALU_DEP_3) | instskip(SKIP_2) | instid1(VALU_DEP_2)
	v_fma_f64 v[2:3], v[28:29], v[8:9], -v[2:3]
	v_add_f64_e32 v[8:9], v[119:120], v[106:107]
	v_add_f64_e64 v[28:29], v[119:120], -v[106:107]
	v_fma_f64 v[14:15], v[8:9], -0.5, v[56:57]
	v_add_f64_e32 v[8:9], v[104:105], v[100:101]
	s_delay_alu instid0(VALU_DEP_1) | instskip(SKIP_1) | instid1(VALU_DEP_1)
	v_fma_f64 v[22:23], v[8:9], -0.5, v[58:59]
	v_add_f64_e32 v[8:9], v[58:59], v[104:105]
	v_add_f64_e32 v[10:11], v[8:9], v[100:101]
	;; [unrolled: 1-line block ×3, first 2 shown]
	v_fma_f64 v[12:13], v[20:21], s[0:1], v[14:15]
	s_wait_alu 0xfffe
	v_fma_f64 v[20:21], v[20:21], s[10:11], v[14:15]
	v_fma_f64 v[14:15], v[28:29], s[10:11], v[22:23]
	;; [unrolled: 1-line block ×3, first 2 shown]
	v_add_f64_e32 v[28:29], v[102:103], v[98:99]
	s_delay_alu instid0(VALU_DEP_1) | instskip(SKIP_3) | instid1(VALU_DEP_3)
	v_fma_f64 v[56:57], v[28:29], -0.5, v[52:53]
	v_add_f64_e32 v[28:29], v[96:97], v[92:93]
	v_add_f64_e32 v[52:53], v[52:53], v[102:103]
	v_add_f64_e64 v[102:103], v[129:130], -v[133:134]
	v_fma_f64 v[58:59], v[28:29], -0.5, v[54:55]
	v_add_f64_e32 v[28:29], v[54:55], v[96:97]
	v_add_f64_e64 v[54:55], v[96:97], -v[92:93]
	s_delay_alu instid0(VALU_DEP_2) | instskip(SKIP_1) | instid1(VALU_DEP_3)
	v_add_f64_e32 v[30:31], v[28:29], v[92:93]
	v_add_f64_e32 v[28:29], v[52:53], v[98:99]
	v_fma_f64 v[52:53], v[54:55], s[0:1], v[56:57]
	v_fma_f64 v[56:57], v[54:55], s[10:11], v[56:57]
	;; [unrolled: 1-line block ×4, first 2 shown]
	v_add_f64_e32 v[60:61], v[94:95], v[90:91]
	s_delay_alu instid0(VALU_DEP_1) | instskip(SKIP_3) | instid1(VALU_DEP_3)
	v_fma_f64 v[62:63], v[60:61], -0.5, v[48:49]
	v_add_f64_e32 v[60:61], v[88:89], v[84:85]
	v_add_f64_e32 v[48:49], v[48:49], v[94:95]
	v_add_f64_e64 v[94:95], v[121:122], -v[125:126]
	v_fma_f64 v[70:71], v[60:61], -0.5, v[50:51]
	v_fma_f64 v[60:61], v[68:69], s[0:1], v[62:63]
	v_fma_f64 v[68:69], v[68:69], s[10:11], v[62:63]
	v_add_f64_e32 v[50:51], v[50:51], v[88:89]
	v_add_f64_e32 v[48:49], v[48:49], v[90:91]
	v_fma_f64 v[62:63], v[72:73], s[10:11], v[70:71]
	v_fma_f64 v[70:71], v[72:73], s[0:1], v[70:71]
	v_add_f64_e32 v[72:73], v[86:87], v[82:83]
	v_add_f64_e32 v[50:51], v[50:51], v[84:85]
	s_delay_alu instid0(VALU_DEP_2) | instskip(SKIP_2) | instid1(VALU_DEP_2)
	v_fma_f64 v[74:75], v[72:73], -0.5, v[44:45]
	v_add_f64_e32 v[72:73], v[80:81], v[77:78]
	v_add_f64_e32 v[44:45], v[44:45], v[86:87]
	v_fma_f64 v[84:85], v[72:73], -0.5, v[46:47]
	v_add_f64_e32 v[46:47], v[46:47], v[80:81]
	v_add_f64_e64 v[79:80], v[80:81], -v[77:78]
	s_delay_alu instid0(VALU_DEP_4) | instskip(SKIP_1) | instid1(VALU_DEP_4)
	v_add_f64_e32 v[44:45], v[44:45], v[82:83]
	v_add_f64_e64 v[81:82], v[86:87], -v[82:83]
	v_add_f64_e32 v[46:47], v[46:47], v[77:78]
	s_delay_alu instid0(VALU_DEP_4) | instskip(SKIP_1) | instid1(VALU_DEP_4)
	v_fma_f64 v[72:73], v[79:80], s[0:1], v[74:75]
	v_fma_f64 v[77:78], v[79:80], s[10:11], v[74:75]
	;; [unrolled: 1-line block ×4, first 2 shown]
	v_add_f64_e32 v[81:82], v[121:122], v[125:126]
	v_add_f64_e32 v[83:84], v[123:124], v[127:128]
	v_add_f64_e64 v[85:86], v[123:124], -v[127:128]
	s_delay_alu instid0(VALU_DEP_3) | instskip(NEXT) | instid1(VALU_DEP_3)
	v_fma_f64 v[81:82], v[81:82], -0.5, v[40:41]
	v_fma_f64 v[83:84], v[83:84], -0.5, v[42:43]
	v_add_f64_e32 v[42:43], v[42:43], v[123:124]
	v_add_f64_e32 v[40:41], v[40:41], v[121:122]
	s_delay_alu instid0(VALU_DEP_4)
	v_fma_f64 v[88:89], v[85:86], s[0:1], v[81:82]
	v_fma_f64 v[92:93], v[85:86], s[10:11], v[81:82]
	;; [unrolled: 1-line block ×4, first 2 shown]
	v_add_f64_e32 v[81:82], v[129:130], v[133:134]
	v_add_f64_e32 v[83:84], v[131:132], v[135:136]
	v_add_f64_e64 v[85:86], v[131:132], -v[135:136]
	v_add_f64_e32 v[40:41], v[40:41], v[125:126]
	v_add_f64_e32 v[42:43], v[42:43], v[127:128]
	v_fma_f64 v[81:82], v[81:82], -0.5, v[36:37]
	v_fma_f64 v[83:84], v[83:84], -0.5, v[38:39]
	v_add_f64_e32 v[38:39], v[38:39], v[131:132]
	v_add_f64_e32 v[36:37], v[36:37], v[129:130]
	s_delay_alu instid0(VALU_DEP_4)
	v_fma_f64 v[96:97], v[85:86], s[0:1], v[81:82]
	v_fma_f64 v[100:101], v[85:86], s[10:11], v[81:82]
	;; [unrolled: 1-line block ×4, first 2 shown]
	v_add_f64_e32 v[81:82], v[113:114], v[66:67]
	v_add_f64_e32 v[83:84], v[64:65], v[137:138]
	;; [unrolled: 1-line block ×4, first 2 shown]
	s_delay_alu instid0(VALU_DEP_4) | instskip(NEXT) | instid1(VALU_DEP_4)
	v_fma_f64 v[81:82], v[81:82], -0.5, v[32:33]
	v_fma_f64 v[83:84], v[83:84], -0.5, v[34:35]
	v_add_f64_e32 v[34:35], v[34:35], v[64:65]
	v_add_f64_e32 v[32:33], v[32:33], v[113:114]
	v_add_f64_e64 v[64:65], v[64:65], -v[137:138]
	s_delay_alu instid0(VALU_DEP_3) | instskip(NEXT) | instid1(VALU_DEP_3)
	v_add_f64_e32 v[34:35], v[34:35], v[137:138]
	v_add_f64_e32 v[32:33], v[32:33], v[66:67]
	v_add_f64_e64 v[66:67], v[113:114], -v[66:67]
	s_delay_alu instid0(VALU_DEP_4)
	v_fma_f64 v[104:105], v[64:65], s[0:1], v[81:82]
	v_fma_f64 v[112:113], v[64:65], s[10:11], v[81:82]
	v_add_f64_e32 v[64:65], v[139:140], v[143:144]
	v_add_f64_e64 v[81:82], v[141:142], -v[145:146]
	v_fma_f64 v[106:107], v[66:67], s[10:11], v[83:84]
	v_fma_f64 v[114:115], v[66:67], s[0:1], v[83:84]
	v_add_f64_e32 v[66:67], v[141:142], v[145:146]
	v_fma_f64 v[64:65], v[64:65], -0.5, v[24:25]
	v_add_f64_e64 v[83:84], v[139:140], -v[143:144]
	v_add_f64_e32 v[24:25], v[24:25], v[139:140]
	s_delay_alu instid0(VALU_DEP_4) | instskip(NEXT) | instid1(VALU_DEP_4)
	v_fma_f64 v[66:67], v[66:67], -0.5, v[26:27]
	v_fma_f64 v[119:120], v[81:82], s[0:1], v[64:65]
	v_fma_f64 v[123:124], v[81:82], s[10:11], v[64:65]
	v_add_f64_e32 v[64:65], v[0:1], v[2:3]
	v_add_f64_e64 v[81:82], v[4:5], -v[6:7]
	v_add_f64_e32 v[26:27], v[26:27], v[141:142]
	v_add_f64_e32 v[24:25], v[24:25], v[143:144]
	v_fma_f64 v[121:122], v[83:84], s[10:11], v[66:67]
	v_fma_f64 v[125:126], v[83:84], s[0:1], v[66:67]
	v_add_f64_e32 v[66:67], v[4:5], v[6:7]
	v_fma_f64 v[64:65], v[64:65], -0.5, v[16:17]
	v_add_f64_e32 v[26:27], v[26:27], v[145:146]
	s_delay_alu instid0(VALU_DEP_3) | instskip(NEXT) | instid1(VALU_DEP_3)
	v_fma_f64 v[66:67], v[66:67], -0.5, v[18:19]
	v_fma_f64 v[84:85], v[81:82], s[0:1], v[64:65]
	v_fma_f64 v[64:65], v[81:82], s[10:11], v[64:65]
	v_add_f64_e64 v[81:82], v[0:1], -v[2:3]
	s_delay_alu instid0(VALU_DEP_1) | instskip(SKIP_2) | instid1(VALU_DEP_1)
	v_fma_f64 v[86:87], v[81:82], s[10:11], v[66:67]
	v_fma_f64 v[66:67], v[81:82], s[0:1], v[66:67]
	v_and_b32_e32 v81, 0xffff, v117
	v_mul_u32_u24_e32 v81, 9, v81
	s_delay_alu instid0(VALU_DEP_1)
	v_add_lshl_u32 v81, v81, v118, 4
	ds_store_b128 v81, v[8:11]
	ds_store_b128 v81, v[12:15] offset:48
	v_and_b32_e32 v8, 0xffff, v147
	scratch_store_b32 off, v81, off offset:776 ; 4-byte Folded Spill
	ds_store_b128 v81, v[20:23] offset:96
	v_mul_u32_u24_e32 v8, 9, v8
	s_delay_alu instid0(VALU_DEP_1)
	v_add_lshl_u32 v8, v8, v148, 4
	ds_store_b128 v8, v[28:31]
	ds_store_b128 v8, v[52:55] offset:48
	scratch_store_b32 off, v8, off offset:772 ; 4-byte Folded Spill
	ds_store_b128 v8, v[56:59] offset:96
	v_and_b32_e32 v8, 0xffff, v149
	s_delay_alu instid0(VALU_DEP_1) | instskip(NEXT) | instid1(VALU_DEP_1)
	v_mul_u32_u24_e32 v8, 9, v8
	v_add_lshl_u32 v8, v8, v150, 4
	ds_store_b128 v8, v[48:51]
	ds_store_b128 v8, v[60:63] offset:48
	scratch_store_b32 off, v8, off offset:720 ; 4-byte Folded Spill
	ds_store_b128 v8, v[68:71] offset:96
	v_and_b32_e32 v8, 0xffff, v151
	s_delay_alu instid0(VALU_DEP_1) | instskip(NEXT) | instid1(VALU_DEP_1)
	v_mul_u32_u24_e32 v8, 9, v8
	v_add_lshl_u32 v8, v8, v152, 4
	ds_store_b128 v8, v[44:47]
	ds_store_b128 v8, v[72:75] offset:48
	scratch_store_b32 off, v8, off offset:700 ; 4-byte Folded Spill
	ds_store_b128 v8, v[77:80] offset:96
	v_mad_u16 v8, v153, 9, v154
	s_delay_alu instid0(VALU_DEP_1) | instskip(NEXT) | instid1(VALU_DEP_1)
	v_and_b32_e32 v8, 0xffff, v8
	v_lshlrev_b32_e32 v8, 4, v8
	ds_store_b128 v8, v[40:43]
	ds_store_b128 v8, v[88:91] offset:48
	scratch_store_b32 off, v8, off offset:664 ; 4-byte Folded Spill
	ds_store_b128 v8, v[92:95] offset:96
	v_mad_u16 v8, v155, 9, v156
	s_delay_alu instid0(VALU_DEP_1) | instskip(NEXT) | instid1(VALU_DEP_1)
	v_and_b32_e32 v8, 0xffff, v8
	v_lshlrev_b32_e32 v8, 4, v8
	;; [unrolled: 8-line block ×4, first 2 shown]
	v_mad_u16 v8, v161, 9, v162
	ds_store_b128 v9, v[24:27]
	ds_store_b128 v9, v[119:122] offset:48
	s_clause 0x1
	scratch_store_b32 off, v8, off offset:632
	scratch_store_b32 off, v9, off offset:652
	ds_store_b128 v9, v[123:126] offset:96
	s_and_saveexec_b32 s0, vcc_lo
	s_cbranch_execz .LBB0_11
; %bb.10:
	v_add_f64_e32 v[0:1], v[16:17], v[0:1]
	v_add_f64_e32 v[4:5], v[18:19], v[4:5]
	s_delay_alu instid0(VALU_DEP_2) | instskip(SKIP_4) | instid1(VALU_DEP_1)
	v_add_f64_e32 v[2:3], v[0:1], v[2:3]
	scratch_load_b32 v0, off, off offset:632 ; 4-byte Folded Reload
	v_add_f64_e32 v[4:5], v[4:5], v[6:7]
	s_wait_loadcnt 0x0
	v_and_b32_e32 v0, 0xffff, v0
	v_lshlrev_b32_e32 v0, 4, v0
	ds_store_b128 v0, v[2:5]
	ds_store_b128 v0, v[84:87] offset:48
	ds_store_b128 v0, v[64:67] offset:96
.LBB0_11:
	s_wait_alu 0xfffe
	s_or_b32 exec_lo, exec_lo, s0
	scratch_load_b32 v170, off, off         ; 4-byte Folded Reload
	v_mul_lo_u16 v0, v116, 57
	v_mul_lo_u16 v1, v185, 57
	;; [unrolled: 1-line block ×3, first 2 shown]
	global_wb scope:SCOPE_SE
	s_wait_storecnt 0x0
	s_wait_loadcnt_dscnt 0x0
	s_barrier_signal -1
	v_lshrrev_b16 v0, 9, v0
	v_lshrrev_b16 v1, 9, v1
	s_barrier_wait -1
	global_inv scope:SCOPE_SE
	s_mov_b32 s12, 0x134454ff
	v_mul_lo_u16 v2, v0, 9
	v_mul_lo_u16 v3, v1, 9
	s_mov_b32 s13, 0x3fee6f0e
	s_mov_b32 s15, 0xbfee6f0e
	s_wait_alu 0xfffe
	s_mov_b32 s14, s12
	s_mov_b32 s11, 0xbfe2cf23
	v_sub_nc_u16 v3, v109, v3
	s_mov_b32 s18, 0x372fe950
	s_mov_b32 s19, 0x3fd3c6ef
	v_and_b32_e32 v0, 0xffff, v0
                                        ; implicit-def: $vgpr172_vgpr173
	s_delay_alu instid0(VALU_DEP_2) | instskip(NEXT) | instid1(VALU_DEP_2)
	v_and_b32_e32 v3, 0xff, v3
	v_mul_u32_u24_e32 v0, 45, v0
	s_delay_alu instid0(VALU_DEP_2) | instskip(SKIP_1) | instid1(VALU_DEP_1)
	v_lshlrev_b32_e32 v8, 6, v3
	v_sub_nc_u16 v2, v170, v2
	v_and_b32_e32 v5, 0xff, v2
	v_lshrrev_b16 v2, 9, v4
	s_delay_alu instid0(VALU_DEP_2) | instskip(NEXT) | instid1(VALU_DEP_2)
	v_lshlrev_b32_e32 v7, 6, v5
	v_mul_lo_u16 v4, v2, 9
	v_add_lshl_u32 v0, v0, v5, 4
	s_clause 0x1
	global_load_b128 v[72:75], v7, s[2:3] offset:96
	global_load_b128 v[77:80], v8, s[2:3] offset:96
	v_sub_nc_u16 v4, v110, v4
	s_delay_alu instid0(VALU_DEP_1) | instskip(NEXT) | instid1(VALU_DEP_1)
	v_and_b32_e32 v4, 0xff, v4
	v_lshlrev_b32_e32 v6, 6, v4
	s_clause 0x7
	global_load_b128 v[88:91], v6, s[2:3] offset:96
	global_load_b128 v[128:131], v7, s[2:3] offset:112
	;; [unrolled: 1-line block ×8, first 2 shown]
	ds_load_b128 v[24:27], v108 offset:5040
	ds_load_b128 v[20:23], v108 offset:6048
	;; [unrolled: 1-line block ×10, first 2 shown]
	s_wait_loadcnt_dscnt 0x909
	v_mul_f64_e32 v[44:45], v[26:27], v[74:75]
	v_mul_f64_e32 v[46:47], v[24:25], v[74:75]
	s_wait_loadcnt_dscnt 0x808
	v_mul_f64_e32 v[48:49], v[22:23], v[79:80]
	v_mul_f64_e32 v[50:51], v[20:21], v[79:80]
	s_clause 0x1
	scratch_store_b128 off, v[72:75], off offset:452
	scratch_store_b128 off, v[77:80], off offset:420
	s_wait_loadcnt 0x7
	scratch_store_b128 off, v[88:91], off offset:436 ; 16-byte Folded Spill
	s_wait_dscnt 0x7
	v_mul_f64_e32 v[56:57], v[18:19], v[90:91]
	v_mul_f64_e32 v[58:59], v[16:17], v[90:91]
	s_wait_loadcnt_dscnt 0x605
	v_mul_f64_e32 v[60:61], v[13:14], v[130:131]
	v_mul_f64_e32 v[62:63], v[11:12], v[130:131]
	s_wait_loadcnt_dscnt 0x504
	v_mul_f64_e32 v[68:69], v[30:31], v[102:103]
	scratch_store_b128 off, v[100:103], off offset:468 ; 16-byte Folded Spill
	s_wait_loadcnt 0x2
	scratch_store_b128 off, v[116:119], off offset:516 ; 16-byte Folded Spill
	s_wait_loadcnt 0x1
	s_clause 0x1
	scratch_store_b128 off, v[120:123], off offset:532
	scratch_store_b128 off, v[128:131], off offset:616
	s_wait_loadcnt 0x0
	s_clause 0x2
	scratch_store_b128 off, v[124:127], off offset:552
	scratch_store_b128 off, v[104:107], off offset:484
	;; [unrolled: 1-line block ×3, first 2 shown]
	v_fma_f64 v[70:71], v[24:25], v[72:73], -v[44:45]
	v_fma_f64 v[72:73], v[26:27], v[72:73], v[46:47]
	v_mul_f64_e32 v[24:25], v[28:29], v[102:103]
	s_wait_dscnt 0x3
	v_mul_f64_e32 v[26:27], v[34:35], v[106:107]
	v_fma_f64 v[74:75], v[20:21], v[77:78], -v[48:49]
	v_fma_f64 v[92:93], v[22:23], v[77:78], v[50:51]
	v_mul_f64_e32 v[20:21], v[32:33], v[106:107]
	s_wait_dscnt 0x2
	v_mul_f64_e32 v[22:23], v[38:39], v[114:115]
	v_mul_f64_e32 v[44:45], v[36:37], v[114:115]
	v_fma_f64 v[96:97], v[16:17], v[88:89], -v[56:57]
	v_fma_f64 v[98:99], v[18:19], v[88:89], v[58:59]
	ds_load_b128 v[15:18], v108 offset:16128
	v_fma_f64 v[77:78], v[11:12], v[128:129], -v[60:61]
	v_fma_f64 v[79:80], v[13:14], v[128:129], v[62:63]
	ds_load_b128 v[11:14], v108 offset:17136
	v_fma_f64 v[28:29], v[28:29], v[100:101], -v[68:69]
	v_fma_f64 v[30:31], v[30:31], v[100:101], v[24:25]
	s_wait_dscnt 0x1
	v_mul_f64_e32 v[24:25], v[17:18], v[118:119]
	v_fma_f64 v[32:33], v[32:33], v[104:105], -v[26:27]
	v_mul_f64_e32 v[26:27], v[15:16], v[118:119]
	v_fma_f64 v[34:35], v[34:35], v[104:105], v[20:21]
	v_fma_f64 v[36:37], v[36:37], v[112:113], -v[22:23]
	ds_load_b128 v[19:22], v108 offset:12096
	v_fma_f64 v[38:39], v[38:39], v[112:113], v[44:45]
	v_add_f64_e64 v[90:91], v[77:78], -v[28:29]
	v_add_f64_e64 v[81:82], v[79:80], -v[30:31]
	v_fma_f64 v[94:95], v[15:16], v[116:117], -v[24:25]
	v_add_f64_e64 v[88:89], v[70:71], -v[32:33]
	v_fma_f64 v[100:101], v[17:18], v[116:117], v[26:27]
	ds_load_b128 v[15:18], v108 offset:13104
	s_wait_dscnt 0x1
	v_mul_f64_e32 v[23:24], v[21:22], v[122:123]
	v_add_f64_e64 v[68:69], v[72:73], -v[34:35]
	s_delay_alu instid0(VALU_DEP_2) | instskip(SKIP_1) | instid1(VALU_DEP_1)
	v_fma_f64 v[116:117], v[19:20], v[120:121], -v[23:24]
	v_mul_f64_e32 v[19:20], v[19:20], v[122:123]
	v_fma_f64 v[118:119], v[21:22], v[120:121], v[19:20]
	s_clause 0x1
	global_load_b128 v[21:24], v6, s[2:3] offset:128
	global_load_b128 v[44:47], v6, s[2:3] offset:144
	v_mul_f64_e32 v[19:20], v[42:43], v[126:127]
	v_mul_lo_u16 v6, v228, 57
	s_delay_alu instid0(VALU_DEP_2) | instskip(SKIP_1) | instid1(VALU_DEP_1)
	v_fma_f64 v[102:103], v[40:41], v[124:125], -v[19:20]
	v_mul_f64_e32 v[19:20], v[40:41], v[126:127]
	v_fma_f64 v[40:41], v[42:43], v[124:125], v[19:20]
	s_wait_loadcnt 0x1
	v_mul_f64_e32 v[19:20], v[13:14], v[23:24]
	scratch_store_b128 off, v[21:24], off offset:1136 ; 16-byte Folded Spill
	v_fma_f64 v[42:43], v[11:12], v[21:22], -v[19:20]
	v_mul_f64_e32 v[11:12], v[11:12], v[23:24]
	s_delay_alu instid0(VALU_DEP_1)
	v_fma_f64 v[120:121], v[13:14], v[21:22], v[11:12]
	ds_load_b128 v[11:14], v108 offset:22176
	ds_load_b128 v[19:22], v108 offset:23184
	s_wait_loadcnt 0x0
	scratch_store_b128 off, v[44:47], off offset:1120 ; 16-byte Folded Spill
	s_wait_dscnt 0x1
	v_mul_f64_e32 v[23:24], v[13:14], v[46:47]
	s_delay_alu instid0(VALU_DEP_1) | instskip(SKIP_2) | instid1(VALU_DEP_1)
	v_fma_f64 v[122:123], v[11:12], v[44:45], -v[23:24]
	v_mul_f64_e32 v[11:12], v[11:12], v[46:47]
	v_lshrrev_b16 v46, 9, v6
	v_mul_lo_u16 v6, v46, 9
	s_delay_alu instid0(VALU_DEP_1) | instskip(NEXT) | instid1(VALU_DEP_1)
	v_sub_nc_u16 v6, v111, v6
	v_and_b32_e32 v47, 0xff, v6
	s_delay_alu instid0(VALU_DEP_1)
	v_lshlrev_b32_e32 v6, 6, v47
	s_clause 0x1
	global_load_b128 v[56:59], v6, s[2:3] offset:96
	global_load_b128 v[48:51], v6, s[2:3] offset:112
	v_fma_f64 v[124:125], v[13:14], v[44:45], v[11:12]
	ds_load_b128 v[11:14], v108 offset:8064
	ds_load_b128 v[23:26], v108 offset:9072
	s_wait_loadcnt_dscnt 0x101
	v_mul_f64_e32 v[44:45], v[13:14], v[58:59]
	scratch_store_b128 off, v[56:59], off offset:1184 ; 16-byte Folded Spill
	s_wait_loadcnt 0x0
	scratch_store_b128 off, v[48:51], off offset:1152 ; 16-byte Folded Spill
	v_fma_f64 v[126:127], v[11:12], v[56:57], -v[44:45]
	v_mul_f64_e32 v[11:12], v[11:12], v[58:59]
	s_delay_alu instid0(VALU_DEP_1) | instskip(SKIP_1) | instid1(VALU_DEP_1)
	v_fma_f64 v[140:141], v[13:14], v[56:57], v[11:12]
	v_mul_f64_e32 v[11:12], v[17:18], v[50:51]
	v_fma_f64 v[142:143], v[15:16], v[48:49], -v[11:12]
	v_mul_f64_e32 v[11:12], v[15:16], v[50:51]
	s_delay_alu instid0(VALU_DEP_1)
	v_fma_f64 v[144:145], v[17:18], v[48:49], v[11:12]
	s_clause 0x1
	global_load_b128 v[56:59], v6, s[2:3] offset:128
	global_load_b128 v[48:51], v6, s[2:3] offset:144
	ds_load_b128 v[11:14], v108 offset:18144
	ds_load_b128 v[15:18], v108 offset:19152
	v_mul_u32_u24_e32 v6, 0xe38f, v76
	scratch_store_b32 off, v168, off offset:1388 ; 4-byte Folded Spill
	s_wait_loadcnt_dscnt 0x101
	v_mul_f64_e32 v[44:45], v[13:14], v[58:59]
	scratch_store_b128 off, v[56:59], off offset:1200 ; 16-byte Folded Spill
	s_wait_loadcnt 0x0
	scratch_store_b128 off, v[48:51], off offset:1168 ; 16-byte Folded Spill
	v_fma_f64 v[146:147], v[11:12], v[56:57], -v[44:45]
	v_mul_f64_e32 v[11:12], v[11:12], v[58:59]
	v_lshrrev_b32_e32 v44, 19, v6
	s_delay_alu instid0(VALU_DEP_1) | instskip(NEXT) | instid1(VALU_DEP_1)
	v_mul_lo_u16 v6, v44, 9
	v_sub_nc_u16 v45, v168, v6
	s_delay_alu instid0(VALU_DEP_1) | instskip(NEXT) | instid1(VALU_DEP_1)
	v_lshlrev_b16 v6, 6, v45
	v_and_b32_e32 v6, 0xffff, v6
	v_fma_f64 v[148:149], v[13:14], v[56:57], v[11:12]
	v_mul_f64_e32 v[11:12], v[21:22], v[50:51]
	s_delay_alu instid0(VALU_DEP_1) | instskip(SKIP_1) | instid1(VALU_DEP_1)
	v_fma_f64 v[150:151], v[19:20], v[48:49], -v[11:12]
	v_mul_f64_e32 v[11:12], v[19:20], v[50:51]
	v_fma_f64 v[152:153], v[21:22], v[48:49], v[11:12]
	v_add_co_u32 v11, s0, s2, v6
	s_wait_alu 0xf1ff
	v_add_co_ci_u32_e64 v12, null, s3, 0, s0
	s_clause 0x1
	global_load_b128 v[48:51], v[11:12], off offset:96
	global_load_b128 v[19:22], v[11:12], off offset:112
	s_mov_b32 s0, 0x4755a5e
	s_mov_b32 s1, 0x3fe2cf23
	s_wait_alu 0xfffe
	s_mov_b32 s10, s0
	s_wait_loadcnt 0x1
	v_mul_f64_e32 v[13:14], v[25:26], v[50:51]
	scratch_store_b128 off, v[48:51], off offset:1248 ; 16-byte Folded Spill
	s_wait_loadcnt 0x0
	scratch_store_b128 off, v[19:22], off offset:1232 ; 16-byte Folded Spill
	v_fma_f64 v[154:155], v[23:24], v[48:49], -v[13:14]
	v_mul_f64_e32 v[13:14], v[23:24], v[50:51]
	s_delay_alu instid0(VALU_DEP_1) | instskip(SKIP_1) | instid1(VALU_DEP_1)
	v_fma_f64 v[156:157], v[25:26], v[48:49], v[13:14]
	v_mul_f64_e32 v[13:14], v[54:55], v[21:22]
	v_fma_f64 v[158:159], v[52:53], v[19:20], -v[13:14]
	v_mul_f64_e32 v[13:14], v[52:53], v[21:22]
	s_delay_alu instid0(VALU_DEP_1)
	v_fma_f64 v[160:161], v[54:55], v[19:20], v[13:14]
	s_clause 0x1
	global_load_b128 v[23:26], v[11:12], off offset:128
	global_load_b128 v[19:22], v[11:12], off offset:144
	s_wait_loadcnt_dscnt 0x100
	v_mul_f64_e32 v[11:12], v[17:18], v[25:26]
	scratch_store_b128 off, v[23:26], off offset:1264 ; 16-byte Folded Spill
	s_wait_loadcnt 0x0
	scratch_store_b128 off, v[19:22], off offset:1216 ; 16-byte Folded Spill
	v_fma_f64 v[162:163], v[15:16], v[23:24], -v[11:12]
	v_mul_f64_e32 v[11:12], v[15:16], v[25:26]
	v_add_f64_e32 v[25:26], v[79:80], v[30:31]
	s_delay_alu instid0(VALU_DEP_2) | instskip(SKIP_4) | instid1(VALU_DEP_1)
	v_fma_f64 v[164:165], v[17:18], v[23:24], v[11:12]
	ds_load_b128 v[11:14], v108 offset:24192
	v_add_f64_e32 v[23:24], v[77:78], v[28:29]
	s_wait_dscnt 0x0
	v_mul_f64_e32 v[15:16], v[13:14], v[21:22]
	v_fma_f64 v[166:167], v[11:12], v[19:20], -v[15:16]
	v_mul_f64_e32 v[11:12], v[11:12], v[21:22]
	s_delay_alu instid0(VALU_DEP_1) | instskip(SKIP_2) | instid1(VALU_DEP_1)
	v_fma_f64 v[168:169], v[13:14], v[19:20], v[11:12]
	v_add_f64_e64 v[11:12], v[70:71], -v[77:78]
	v_add_f64_e64 v[13:14], v[32:33], -v[28:29]
	v_add_f64_e32 v[19:20], v[11:12], v[13:14]
	v_add_f64_e64 v[11:12], v[72:73], -v[79:80]
	v_add_f64_e64 v[13:14], v[34:35], -v[30:31]
	s_delay_alu instid0(VALU_DEP_1)
	v_add_f64_e32 v[21:22], v[11:12], v[13:14]
	ds_load_b128 v[11:14], v108
	ds_load_b128 v[15:18], v108 offset:1008
	s_wait_dscnt 0x1
	v_fma_f64 v[23:24], v[23:24], -0.5, v[11:12]
	v_fma_f64 v[25:26], v[25:26], -0.5, v[13:14]
	s_delay_alu instid0(VALU_DEP_2) | instskip(NEXT) | instid1(VALU_DEP_2)
	v_fma_f64 v[56:57], v[68:69], s[12:13], v[23:24]
	v_fma_f64 v[58:59], v[88:89], s[14:15], v[25:26]
	;; [unrolled: 1-line block ×4, first 2 shown]
	s_delay_alu instid0(VALU_DEP_4) | instskip(SKIP_1) | instid1(VALU_DEP_4)
	v_fma_f64 v[56:57], v[81:82], s[0:1], v[56:57]
	s_wait_alu 0xfffe
	v_fma_f64 v[58:59], v[90:91], s[10:11], v[58:59]
	s_delay_alu instid0(VALU_DEP_4) | instskip(NEXT) | instid1(VALU_DEP_4)
	v_fma_f64 v[23:24], v[81:82], s[10:11], v[23:24]
	v_fma_f64 v[25:26], v[90:91], s[0:1], v[25:26]
	s_delay_alu instid0(VALU_DEP_4) | instskip(NEXT) | instid1(VALU_DEP_4)
	v_fma_f64 v[56:57], v[19:20], s[18:19], v[56:57]
	;; [unrolled: 3-line block ×3, first 2 shown]
	v_fma_f64 v[62:63], v[21:22], s[18:19], v[25:26]
	v_add_f64_e32 v[19:20], v[70:71], v[32:33]
	v_add_f64_e32 v[21:22], v[72:73], v[34:35]
	v_add_f64_e64 v[23:24], v[77:78], -v[70:71]
	v_add_f64_e64 v[25:26], v[79:80], -v[72:73]
	s_delay_alu instid0(VALU_DEP_4) | instskip(NEXT) | instid1(VALU_DEP_4)
	v_fma_f64 v[19:20], v[19:20], -0.5, v[11:12]
	v_fma_f64 v[21:22], v[21:22], -0.5, v[13:14]
	v_add_f64_e32 v[11:12], v[11:12], v[70:71]
	v_add_f64_e32 v[13:14], v[13:14], v[72:73]
	v_add_f64_e64 v[72:73], v[36:37], -v[94:95]
	s_delay_alu instid0(VALU_DEP_3) | instskip(NEXT) | instid1(VALU_DEP_3)
	v_add_f64_e32 v[11:12], v[11:12], v[77:78]
	v_add_f64_e32 v[13:14], v[13:14], v[79:80]
	s_delay_alu instid0(VALU_DEP_2) | instskip(NEXT) | instid1(VALU_DEP_2)
	v_add_f64_e32 v[11:12], v[11:12], v[28:29]
	v_add_f64_e32 v[13:14], v[13:14], v[30:31]
	v_add_f64_e64 v[27:28], v[28:29], -v[32:33]
	v_add_f64_e64 v[29:30], v[30:31], -v[34:35]
	s_delay_alu instid0(VALU_DEP_4) | instskip(NEXT) | instid1(VALU_DEP_4)
	v_add_f64_e32 v[11:12], v[11:12], v[32:33]
	v_add_f64_e32 v[13:14], v[13:14], v[34:35]
	v_fma_f64 v[31:32], v[81:82], s[14:15], v[19:20]
	v_fma_f64 v[19:20], v[81:82], s[12:13], v[19:20]
	;; [unrolled: 1-line block ×4, first 2 shown]
	v_add_f64_e32 v[23:24], v[23:24], v[27:28]
	v_add_f64_e32 v[25:26], v[25:26], v[29:30]
	v_fma_f64 v[27:28], v[68:69], s[0:1], v[31:32]
	v_fma_f64 v[19:20], v[68:69], s[10:11], v[19:20]
	;; [unrolled: 1-line block ×4, first 2 shown]
	v_add_f64_e64 v[33:34], v[74:75], -v[102:103]
	v_fma_f64 v[68:69], v[23:24], s[18:19], v[27:28]
	v_fma_f64 v[76:77], v[23:24], s[18:19], v[19:20]
	v_add_f64_e64 v[19:20], v[74:75], -v[36:37]
	v_fma_f64 v[78:79], v[25:26], s[18:19], v[21:22]
	v_add_f64_e64 v[21:22], v[102:103], -v[94:95]
	v_add_f64_e64 v[23:24], v[40:41], -v[100:101]
	v_fma_f64 v[70:71], v[25:26], s[18:19], v[29:30]
	v_add_f64_e32 v[25:26], v[38:39], v[100:101]
	v_add_f64_e64 v[27:28], v[92:93], -v[40:41]
	v_add_f64_e64 v[29:30], v[38:39], -v[100:101]
	v_add_f64_e32 v[19:20], v[19:20], v[21:22]
	v_add_f64_e64 v[21:22], v[92:93], -v[38:39]
	s_wait_dscnt 0x0
	v_fma_f64 v[25:26], v[25:26], -0.5, v[17:18]
	s_delay_alu instid0(VALU_DEP_2) | instskip(SKIP_1) | instid1(VALU_DEP_3)
	v_add_f64_e32 v[21:22], v[21:22], v[23:24]
	v_add_f64_e32 v[23:24], v[36:37], v[94:95]
	v_fma_f64 v[80:81], v[33:34], s[14:15], v[25:26]
	v_fma_f64 v[25:26], v[33:34], s[12:13], v[25:26]
	s_delay_alu instid0(VALU_DEP_3) | instskip(NEXT) | instid1(VALU_DEP_3)
	v_fma_f64 v[23:24], v[23:24], -0.5, v[15:16]
	v_fma_f64 v[82:83], v[72:73], s[10:11], v[80:81]
	s_delay_alu instid0(VALU_DEP_3) | instskip(NEXT) | instid1(VALU_DEP_3)
	v_fma_f64 v[25:26], v[72:73], s[0:1], v[25:26]
	v_fma_f64 v[31:32], v[27:28], s[12:13], v[23:24]
	;; [unrolled: 1-line block ×3, first 2 shown]
	s_delay_alu instid0(VALU_DEP_4) | instskip(NEXT) | instid1(VALU_DEP_4)
	v_fma_f64 v[82:83], v[21:22], s[18:19], v[82:83]
	v_fma_f64 v[90:91], v[21:22], s[18:19], v[25:26]
	v_add_f64_e32 v[21:22], v[92:93], v[40:41]
	v_add_f64_e64 v[25:26], v[38:39], -v[92:93]
	v_fma_f64 v[31:32], v[29:30], s[0:1], v[31:32]
	v_fma_f64 v[23:24], v[29:30], s[10:11], v[23:24]
	s_delay_alu instid0(VALU_DEP_4) | instskip(SKIP_1) | instid1(VALU_DEP_4)
	v_fma_f64 v[21:22], v[21:22], -0.5, v[17:18]
	v_add_f64_e32 v[17:18], v[17:18], v[92:93]
	v_fma_f64 v[80:81], v[19:20], s[18:19], v[31:32]
	s_delay_alu instid0(VALU_DEP_4) | instskip(SKIP_4) | instid1(VALU_DEP_4)
	v_fma_f64 v[88:89], v[19:20], s[18:19], v[23:24]
	v_add_f64_e32 v[19:20], v[74:75], v[102:103]
	v_add_f64_e64 v[23:24], v[36:37], -v[74:75]
	v_add_f64_e64 v[31:32], v[94:95], -v[102:103]
	v_add_f64_e32 v[17:18], v[17:18], v[38:39]
	v_fma_f64 v[19:20], v[19:20], -0.5, v[15:16]
	v_add_f64_e32 v[15:16], v[15:16], v[74:75]
	s_delay_alu instid0(VALU_DEP_4) | instskip(NEXT) | instid1(VALU_DEP_4)
	v_add_f64_e32 v[23:24], v[23:24], v[31:32]
	v_add_f64_e32 v[17:18], v[17:18], v[100:101]
	v_add_f64_e64 v[74:75], v[116:117], -v[42:43]
	s_delay_alu instid0(VALU_DEP_4)
	v_add_f64_e32 v[15:16], v[15:16], v[36:37]
	v_add_f64_e64 v[35:36], v[100:101], -v[40:41]
	v_fma_f64 v[37:38], v[29:30], s[14:15], v[19:20]
	v_fma_f64 v[19:20], v[29:30], s[12:13], v[19:20]
	;; [unrolled: 1-line block ×4, first 2 shown]
	v_add_f64_e64 v[72:73], v[96:97], -v[122:123]
	v_add_f64_e32 v[17:18], v[17:18], v[40:41]
	v_add_f64_e32 v[15:16], v[15:16], v[94:95]
	;; [unrolled: 1-line block ×3, first 2 shown]
	v_fma_f64 v[31:32], v[27:28], s[0:1], v[37:38]
	v_fma_f64 v[19:20], v[27:28], s[10:11], v[19:20]
	;; [unrolled: 1-line block ×4, first 2 shown]
	v_add_f64_e32 v[33:34], v[118:119], v[120:121]
	v_add_f64_e64 v[35:36], v[98:99], -v[124:125]
	v_add_f64_e64 v[37:38], v[118:119], -v[120:121]
	v_add_f64_e32 v[15:16], v[15:16], v[102:103]
	v_fma_f64 v[92:93], v[23:24], s[18:19], v[31:32]
	v_fma_f64 v[100:101], v[23:24], s[18:19], v[19:20]
	v_add_f64_e64 v[19:20], v[96:97], -v[116:117]
	v_fma_f64 v[102:103], v[25:26], s[18:19], v[21:22]
	v_add_f64_e64 v[21:22], v[122:123], -v[42:43]
	v_fma_f64 v[94:95], v[25:26], s[18:19], v[27:28]
	v_add_f64_e32 v[31:32], v[116:117], v[42:43]
	s_delay_alu instid0(VALU_DEP_3) | instskip(SKIP_2) | instid1(VALU_DEP_1)
	v_add_f64_e32 v[27:28], v[19:20], v[21:22]
	v_add_f64_e64 v[19:20], v[98:99], -v[118:119]
	v_add_f64_e64 v[21:22], v[124:125], -v[120:121]
	v_add_f64_e32 v[29:30], v[19:20], v[21:22]
	ds_load_b128 v[19:22], v108 offset:2016
	ds_load_b128 v[23:26], v108 offset:3024
	global_wb scope:SCOPE_SE
	s_wait_storecnt_dscnt 0x0
	s_barrier_signal -1
	s_barrier_wait -1
	global_inv scope:SCOPE_SE
	ds_store_b128 v0, v[11:14]
	ds_store_b128 v0, v[56:59] offset:144
	ds_store_b128 v0, v[68:71] offset:288
	ds_store_b128 v0, v[76:79] offset:432
	scratch_store_b32 off, v0, off offset:1116 ; 4-byte Folded Spill
	ds_store_b128 v0, v[60:63] offset:576
	v_and_b32_e32 v0, 0xffff, v1
	s_delay_alu instid0(VALU_DEP_1) | instskip(NEXT) | instid1(VALU_DEP_1)
	v_mul_u32_u24_e32 v0, 45, v0
	v_add_lshl_u32 v0, v0, v3, 4
	v_fma_f64 v[31:32], v[31:32], -0.5, v[19:20]
	v_fma_f64 v[33:34], v[33:34], -0.5, v[21:22]
	ds_store_b128 v0, v[15:18]
	ds_store_b128 v0, v[80:83] offset:144
	ds_store_b128 v0, v[92:95] offset:288
	;; [unrolled: 1-line block ×3, first 2 shown]
	scratch_store_b32 off, v0, off offset:1112 ; 4-byte Folded Spill
	ds_store_b128 v0, v[88:91] offset:576
	v_and_b32_e32 v0, 0xffff, v2
	s_delay_alu instid0(VALU_DEP_1) | instskip(NEXT) | instid1(VALU_DEP_1)
	v_mul_u32_u24_e32 v0, 45, v0
	v_add_lshl_u32 v0, v0, v4, 4
	v_fma_f64 v[39:40], v[35:36], s[12:13], v[31:32]
	v_fma_f64 v[104:105], v[72:73], s[14:15], v[33:34]
	;; [unrolled: 1-line block ×4, first 2 shown]
	s_delay_alu instid0(VALU_DEP_4) | instskip(NEXT) | instid1(VALU_DEP_4)
	v_fma_f64 v[39:40], v[37:38], s[0:1], v[39:40]
	v_fma_f64 v[106:107], v[74:75], s[10:11], v[104:105]
	s_delay_alu instid0(VALU_DEP_4) | instskip(NEXT) | instid1(VALU_DEP_4)
	v_fma_f64 v[31:32], v[37:38], s[10:11], v[31:32]
	v_fma_f64 v[33:34], v[74:75], s[0:1], v[33:34]
	;; [unrolled: 3-line block ×4, first 2 shown]
	v_add_f64_e32 v[27:28], v[96:97], v[122:123]
	v_add_f64_e32 v[29:30], v[98:99], v[124:125]
	v_add_f64_e64 v[31:32], v[116:117], -v[96:97]
	v_add_f64_e64 v[33:34], v[118:119], -v[98:99]
	;; [unrolled: 1-line block ×3, first 2 shown]
	v_fma_f64 v[27:28], v[27:28], -0.5, v[19:20]
	v_fma_f64 v[29:30], v[29:30], -0.5, v[21:22]
	v_add_f64_e32 v[19:20], v[19:20], v[96:97]
	v_add_f64_e32 v[21:22], v[21:22], v[98:99]
	;; [unrolled: 1-line block ×3, first 2 shown]
	v_add_f64_e64 v[39:40], v[142:143], -v[146:147]
	s_delay_alu instid0(VALU_DEP_4) | instskip(NEXT) | instid1(VALU_DEP_4)
	v_add_f64_e32 v[19:20], v[19:20], v[116:117]
	v_add_f64_e32 v[21:22], v[21:22], v[118:119]
	s_delay_alu instid0(VALU_DEP_2) | instskip(NEXT) | instid1(VALU_DEP_2)
	v_add_f64_e32 v[19:20], v[19:20], v[42:43]
	v_add_f64_e32 v[21:22], v[21:22], v[120:121]
	s_delay_alu instid0(VALU_DEP_2) | instskip(NEXT) | instid1(VALU_DEP_2)
	v_add_f64_e32 v[116:117], v[19:20], v[122:123]
	v_add_f64_e32 v[118:119], v[21:22], v[124:125]
	v_add_f64_e64 v[19:20], v[120:121], -v[124:125]
	v_fma_f64 v[21:22], v[37:38], s[14:15], v[27:28]
	v_fma_f64 v[27:28], v[37:38], s[12:13], v[27:28]
	;; [unrolled: 1-line block ×4, first 2 shown]
	v_add_f64_e32 v[19:20], v[33:34], v[19:20]
	v_fma_f64 v[21:22], v[35:36], s[0:1], v[21:22]
	v_fma_f64 v[27:28], v[35:36], s[10:11], v[27:28]
	;; [unrolled: 1-line block ×4, first 2 shown]
	v_add_f64_e64 v[37:38], v[126:127], -v[150:151]
	v_fma_f64 v[120:121], v[31:32], s[18:19], v[21:22]
	v_add_f64_e64 v[21:22], v[150:151], -v[146:147]
	v_fma_f64 v[122:123], v[19:20], s[18:19], v[33:34]
	v_fma_f64 v[130:131], v[19:20], s[18:19], v[29:30]
	v_add_f64_e64 v[19:20], v[126:127], -v[142:143]
	v_fma_f64 v[128:129], v[31:32], s[18:19], v[27:28]
	v_add_f64_e64 v[27:28], v[152:153], -v[148:149]
	v_add_f64_e32 v[29:30], v[144:145], v[148:149]
	v_add_f64_e64 v[31:32], v[140:141], -v[152:153]
	v_add_f64_e64 v[33:34], v[144:145], -v[148:149]
	ds_store_b128 v0, v[116:119]
	ds_store_b128 v0, v[104:107] offset:144
	ds_store_b128 v0, v[120:123] offset:288
	;; [unrolled: 1-line block ×3, first 2 shown]
	scratch_store_b32 off, v0, off offset:1108 ; 4-byte Folded Spill
	v_add_f64_e32 v[19:20], v[19:20], v[21:22]
	v_add_f64_e64 v[21:22], v[140:141], -v[144:145]
	ds_store_b128 v0, v[112:115] offset:576
	v_fma_f64 v[29:30], v[29:30], -0.5, v[25:26]
	v_and_b32_e32 v0, 0xffff, v46
	s_delay_alu instid0(VALU_DEP_1) | instskip(NEXT) | instid1(VALU_DEP_1)
	v_mul_u32_u24_e32 v0, 45, v0
	v_add_lshl_u32 v0, v0, v47, 4
	v_add_f64_e32 v[21:22], v[21:22], v[27:28]
	v_add_f64_e32 v[27:28], v[142:143], v[146:147]
	v_fma_f64 v[41:42], v[37:38], s[14:15], v[29:30]
	v_fma_f64 v[29:30], v[37:38], s[12:13], v[29:30]
	s_delay_alu instid0(VALU_DEP_3) | instskip(NEXT) | instid1(VALU_DEP_3)
	v_fma_f64 v[27:28], v[27:28], -0.5, v[23:24]
	v_fma_f64 v[41:42], v[39:40], s[10:11], v[41:42]
	s_delay_alu instid0(VALU_DEP_3) | instskip(NEXT) | instid1(VALU_DEP_3)
	v_fma_f64 v[29:30], v[39:40], s[0:1], v[29:30]
	v_fma_f64 v[35:36], v[31:32], s[12:13], v[27:28]
	;; [unrolled: 1-line block ×3, first 2 shown]
	s_delay_alu instid0(VALU_DEP_4) | instskip(NEXT) | instid1(VALU_DEP_4)
	v_fma_f64 v[134:135], v[21:22], s[18:19], v[41:42]
	v_fma_f64 v[138:139], v[21:22], s[18:19], v[29:30]
	v_add_f64_e32 v[21:22], v[140:141], v[152:153]
	v_add_f64_e64 v[29:30], v[144:145], -v[140:141]
	v_fma_f64 v[35:36], v[33:34], s[0:1], v[35:36]
	v_fma_f64 v[27:28], v[33:34], s[10:11], v[27:28]
	s_delay_alu instid0(VALU_DEP_4) | instskip(SKIP_1) | instid1(VALU_DEP_4)
	v_fma_f64 v[21:22], v[21:22], -0.5, v[25:26]
	v_add_f64_e32 v[25:26], v[25:26], v[140:141]
	v_fma_f64 v[132:133], v[19:20], s[18:19], v[35:36]
	s_delay_alu instid0(VALU_DEP_4) | instskip(SKIP_4) | instid1(VALU_DEP_4)
	v_fma_f64 v[136:137], v[19:20], s[18:19], v[27:28]
	v_add_f64_e32 v[19:20], v[126:127], v[150:151]
	v_add_f64_e64 v[27:28], v[142:143], -v[126:127]
	v_add_f64_e64 v[35:36], v[146:147], -v[150:151]
	v_add_f64_e32 v[25:26], v[25:26], v[144:145]
	v_fma_f64 v[19:20], v[19:20], -0.5, v[23:24]
	v_add_f64_e32 v[23:24], v[23:24], v[126:127]
	s_delay_alu instid0(VALU_DEP_4) | instskip(NEXT) | instid1(VALU_DEP_4)
	v_add_f64_e32 v[27:28], v[27:28], v[35:36]
	v_add_f64_e32 v[25:26], v[25:26], v[148:149]
	v_add_f64_e64 v[35:36], v[154:155], -v[166:167]
	s_delay_alu instid0(VALU_DEP_4) | instskip(NEXT) | instid1(VALU_DEP_3)
	v_add_f64_e32 v[23:24], v[23:24], v[142:143]
	v_add_f64_e32 v[142:143], v[25:26], v[152:153]
	v_fma_f64 v[25:26], v[33:34], s[14:15], v[19:20]
	v_fma_f64 v[19:20], v[33:34], s[12:13], v[19:20]
	;; [unrolled: 1-line block ×4, first 2 shown]
	v_add_f64_e32 v[23:24], v[23:24], v[146:147]
	v_fma_f64 v[25:26], v[31:32], s[0:1], v[25:26]
	v_fma_f64 v[19:20], v[31:32], s[10:11], v[19:20]
	s_delay_alu instid0(VALU_DEP_4) | instskip(NEXT) | instid1(VALU_DEP_4)
	v_fma_f64 v[21:22], v[37:38], s[0:1], v[21:22]
	v_add_f64_e32 v[140:141], v[23:24], v[150:151]
	v_add_f64_e64 v[23:24], v[148:149], -v[152:153]
	v_fma_f64 v[144:145], v[27:28], s[18:19], v[25:26]
	v_fma_f64 v[148:149], v[27:28], s[18:19], v[19:20]
	v_add_f64_e64 v[19:20], v[158:159], -v[154:155]
	v_add_f64_e32 v[25:26], v[156:157], v[168:169]
	v_add_f64_e64 v[27:28], v[160:161], -v[164:165]
	v_add_f64_e32 v[23:24], v[29:30], v[23:24]
	v_fma_f64 v[29:30], v[37:38], s[10:11], v[33:34]
	v_add_f64_e64 v[33:34], v[158:159], -v[162:163]
	v_fma_f64 v[25:26], v[25:26], -0.5, v[9:10]
	s_delay_alu instid0(VALU_DEP_4)
	v_fma_f64 v[150:151], v[23:24], s[18:19], v[21:22]
	v_add_f64_e64 v[21:22], v[162:163], -v[166:167]
	v_fma_f64 v[146:147], v[23:24], s[18:19], v[29:30]
	v_add_f64_e64 v[23:24], v[164:165], -v[168:169]
	v_add_f64_e64 v[29:30], v[156:157], -v[168:169]
	v_fma_f64 v[37:38], v[33:34], s[12:13], v[25:26]
	v_fma_f64 v[25:26], v[33:34], s[14:15], v[25:26]
	ds_store_b128 v0, v[140:143]
	ds_store_b128 v0, v[132:135] offset:144
	ds_store_b128 v0, v[144:147] offset:288
	;; [unrolled: 1-line block ×3, first 2 shown]
	v_add_f64_e32 v[19:20], v[19:20], v[21:22]
	v_add_f64_e64 v[21:22], v[160:161], -v[156:157]
	scratch_store_b32 off, v0, off offset:1104 ; 4-byte Folded Spill
	ds_store_b128 v0, v[136:139] offset:576
	v_fma_f64 v[37:38], v[35:36], s[10:11], v[37:38]
	v_fma_f64 v[25:26], v[35:36], s[0:1], v[25:26]
	v_mad_u16 v0, v44, 45, v45
	s_delay_alu instid0(VALU_DEP_1) | instskip(NEXT) | instid1(VALU_DEP_1)
	v_and_b32_e32 v0, 0xffff, v0
	v_lshlrev_b32_e32 v0, 4, v0
	v_add_f64_e32 v[21:22], v[21:22], v[23:24]
	v_add_f64_e32 v[23:24], v[154:155], v[166:167]
	s_delay_alu instid0(VALU_DEP_2) | instskip(NEXT) | instid1(VALU_DEP_2)
	v_fma_f64 v[74:75], v[21:22], s[18:19], v[37:38]
	v_fma_f64 v[23:24], v[23:24], -0.5, v[7:8]
	v_fma_f64 v[98:99], v[21:22], s[18:19], v[25:26]
	v_add_f64_e32 v[21:22], v[160:161], v[164:165]
	v_add_f64_e64 v[25:26], v[156:157], -v[160:161]
	v_add_f64_e64 v[37:38], v[168:169], -v[164:165]
	v_fma_f64 v[31:32], v[27:28], s[14:15], v[23:24]
	v_fma_f64 v[23:24], v[27:28], s[12:13], v[23:24]
	v_fma_f64 v[21:22], v[21:22], -0.5, v[9:10]
	s_delay_alu instid0(VALU_DEP_3) | instskip(NEXT) | instid1(VALU_DEP_3)
	v_fma_f64 v[31:32], v[29:30], s[0:1], v[31:32]
	v_fma_f64 v[23:24], v[29:30], s[10:11], v[23:24]
	s_delay_alu instid0(VALU_DEP_2) | instskip(NEXT) | instid1(VALU_DEP_2)
	v_fma_f64 v[72:73], v[19:20], s[18:19], v[31:32]
	v_fma_f64 v[96:97], v[19:20], s[18:19], v[23:24]
	v_add_f64_e32 v[19:20], v[158:159], v[162:163]
	v_add_f64_e64 v[23:24], v[154:155], -v[158:159]
	v_add_f64_e64 v[31:32], v[166:167], -v[162:163]
	s_delay_alu instid0(VALU_DEP_3) | instskip(SKIP_2) | instid1(VALU_DEP_4)
	v_fma_f64 v[19:20], v[19:20], -0.5, v[7:8]
	v_add_f64_e32 v[6:7], v[7:8], v[154:155]
	v_add_f64_e32 v[8:9], v[9:10], v[156:157]
	;; [unrolled: 1-line block ×3, first 2 shown]
	s_delay_alu instid0(VALU_DEP_4) | instskip(NEXT) | instid1(VALU_DEP_4)
	v_fma_f64 v[39:40], v[29:30], s[12:13], v[19:20]
	v_add_f64_e32 v[6:7], v[6:7], v[158:159]
	s_delay_alu instid0(VALU_DEP_4)
	v_add_f64_e32 v[8:9], v[8:9], v[160:161]
	v_fma_f64 v[19:20], v[29:30], s[14:15], v[19:20]
	v_fma_f64 v[29:30], v[35:36], s[14:15], v[21:22]
	;; [unrolled: 1-line block ×3, first 2 shown]
	v_add_f64_e32 v[35:36], v[25:26], v[37:38]
	v_fma_f64 v[23:24], v[27:28], s[0:1], v[39:40]
	v_add_f64_e32 v[6:7], v[6:7], v[162:163]
	v_add_f64_e32 v[8:9], v[8:9], v[164:165]
	v_fma_f64 v[19:20], v[27:28], s[10:11], v[19:20]
	v_fma_f64 v[25:26], v[33:34], s[10:11], v[29:30]
	;; [unrolled: 1-line block ×3, first 2 shown]
	v_cmp_gt_u16_e64 s0, 36, v170
	v_fma_f64 v[22:23], v[31:32], s[18:19], v[23:24]
	v_add_f64_e32 v[6:7], v[6:7], v[166:167]
	v_add_f64_e32 v[8:9], v[8:9], v[168:169]
	v_fma_f64 v[124:125], v[31:32], s[18:19], v[19:20]
	v_fma_f64 v[24:25], v[35:36], s[18:19], v[25:26]
	;; [unrolled: 1-line block ×3, first 2 shown]
	ds_store_b128 v0, v[6:9]
	ds_store_b128 v0, v[22:25] offset:144
	ds_store_b128 v0, v[72:75] offset:288
	;; [unrolled: 1-line block ×3, first 2 shown]
	scratch_store_b32 off, v0, off offset:1100 ; 4-byte Folded Spill
	ds_store_b128 v0, v[124:127] offset:576
	global_wb scope:SCOPE_SE
	s_wait_storecnt_dscnt 0x0
	s_barrier_signal -1
	s_barrier_wait -1
	global_inv scope:SCOPE_SE
	ds_load_b128 v[120:123], v108
	ds_load_b128 v[116:119], v108 offset:1008
	ds_load_b128 v[76:79], v108 offset:7200
	;; [unrolled: 1-line block ×20, first 2 shown]
	s_and_saveexec_b32 s1, s0
	s_cbranch_execz .LBB0_13
; %bb.12:
	ds_load_b128 v[22:25], v108 offset:3024
	ds_load_b128 v[72:75], v108 offset:6624
	;; [unrolled: 1-line block ×7, first 2 shown]
.LBB0_13:
	s_wait_alu 0xfffe
	s_or_b32 exec_lo, exec_lo, s1
	scratch_load_b32 v26, off, off          ; 4-byte Folded Reload
	s_mov_b32 s14, 0x36b3c0b5
	s_mov_b32 s22, 0xe976ee23
	;; [unrolled: 1-line block ×19, first 2 shown]
	s_wait_alu 0xfffe
	s_mov_b32 s26, s18
	s_wait_loadcnt 0x0
	v_subrev_nc_u32_e32 v0, 45, v26
	v_cmp_gt_u16_e64 s1, 45, v26
	s_wait_alu 0xf1ff
	s_delay_alu instid0(VALU_DEP_1) | instskip(NEXT) | instid1(VALU_DEP_1)
	v_cndmask_b32_e64 v27, v0, v26, s1
	v_mul_i32_i24_e32 v0, 0x60, v27
	v_mul_hi_i32_i24_e32 v1, 0x60, v27
	s_delay_alu instid0(VALU_DEP_2) | instskip(SKIP_1) | instid1(VALU_DEP_2)
	v_add_co_u32 v0, s1, s2, v0
	s_wait_alu 0xf1ff
	v_add_co_ci_u32_e64 v1, s1, s3, v1, s1
	v_cmp_lt_u16_e64 s1, 44, v26
	s_clause 0x1
	global_load_b128 v[4:7], v[0:1], off offset:672
	global_load_b128 v[8:11], v[0:1], off offset:688
	s_wait_loadcnt_dscnt 0x10c
	v_mul_f64_e32 v[2:3], v[82:83], v[6:7]
	scratch_store_b128 off, v[4:7], off offset:1280 ; 16-byte Folded Spill
	s_wait_loadcnt 0x0
	scratch_store_b128 off, v[8:11], off offset:1328 ; 16-byte Folded Spill
	v_fma_f64 v[178:179], v[80:81], v[4:5], -v[2:3]
	v_mul_f64_e32 v[2:3], v[80:81], v[6:7]
	s_delay_alu instid0(VALU_DEP_1) | instskip(SKIP_4) | instid1(VALU_DEP_1)
	v_fma_f64 v[176:177], v[82:83], v[4:5], v[2:3]
	s_clause 0x1
	global_load_b128 v[4:7], v[0:1], off offset:736
	global_load_b128 v[80:83], v[0:1], off offset:752
	v_mul_f64_e32 v[2:3], v[78:79], v[10:11]
	v_fma_f64 v[182:183], v[76:77], v[8:9], -v[2:3]
	v_mul_f64_e32 v[2:3], v[76:77], v[10:11]
	s_delay_alu instid0(VALU_DEP_1)
	v_fma_f64 v[180:181], v[78:79], v[8:9], v[2:3]
	s_wait_loadcnt_dscnt 0x104
	v_mul_f64_e32 v[2:3], v[90:91], v[6:7]
	scratch_store_b128 off, v[4:7], off offset:1360 ; 16-byte Folded Spill
	v_fma_f64 v[192:193], v[88:89], v[4:5], -v[2:3]
	v_mul_f64_e32 v[2:3], v[88:89], v[6:7]
	s_delay_alu instid0(VALU_DEP_1) | instskip(SKIP_2) | instid1(VALU_DEP_1)
	v_fma_f64 v[188:189], v[90:91], v[4:5], v[2:3]
	s_wait_loadcnt 0x0
	v_mul_f64_e32 v[2:3], v[62:63], v[82:83]
	v_fma_f64 v[198:199], v[60:61], v[80:81], -v[2:3]
	v_mul_f64_e32 v[2:3], v[60:61], v[82:83]
	s_delay_alu instid0(VALU_DEP_1)
	v_fma_f64 v[196:197], v[62:63], v[80:81], v[2:3]
	s_clause 0x1
	global_load_b128 v[2:5], v[0:1], off offset:704
	global_load_b128 v[88:91], v[0:1], off offset:720
	s_wait_loadcnt 0x1
	v_mul_f64_e32 v[0:1], v[142:143], v[4:5]
	scratch_store_b128 off, v[2:5], off offset:1296 ; 16-byte Folded Spill
	v_fma_f64 v[222:223], v[140:141], v[2:3], -v[0:1]
	v_mul_f64_e32 v[0:1], v[140:141], v[4:5]
	s_delay_alu instid0(VALU_DEP_1) | instskip(SKIP_2) | instid1(VALU_DEP_1)
	v_fma_f64 v[220:221], v[142:143], v[2:3], v[0:1]
	s_wait_loadcnt 0x0
	v_mul_f64_e32 v[0:1], v[94:95], v[90:91]
	v_fma_f64 v[226:227], v[92:93], v[88:89], -v[0:1]
	v_mul_f64_e32 v[0:1], v[92:93], v[90:91]
	s_delay_alu instid0(VALU_DEP_1) | instskip(SKIP_1) | instid1(VALU_DEP_1)
	v_fma_f64 v[224:225], v[94:95], v[88:89], v[0:1]
	v_mul_lo_u16 v0, 0x6d, v185
	v_lshrrev_b16 v0, 8, v0
	s_delay_alu instid0(VALU_DEP_1) | instskip(NEXT) | instid1(VALU_DEP_1)
	v_sub_nc_u16 v1, v109, v0
	v_lshrrev_b16 v1, 1, v1
	s_delay_alu instid0(VALU_DEP_1) | instskip(NEXT) | instid1(VALU_DEP_1)
	v_and_b32_e32 v1, 0x7f, v1
	v_add_nc_u16 v0, v1, v0
	s_delay_alu instid0(VALU_DEP_1) | instskip(NEXT) | instid1(VALU_DEP_1)
	v_lshrrev_b16 v60, 5, v0
	v_mul_lo_u16 v0, v60, 45
	s_delay_alu instid0(VALU_DEP_1) | instskip(NEXT) | instid1(VALU_DEP_1)
	v_sub_nc_u16 v0, v109, v0
	v_and_b32_e32 v61, 0xff, v0
	s_delay_alu instid0(VALU_DEP_1)
	v_mad_co_u64_u32 v[16:17], null, 0x60, v61, s[2:3]
	s_clause 0x1
	global_load_b128 v[92:95], v[16:17], off offset:672
	global_load_b128 v[140:143], v[16:17], off offset:688
	s_wait_loadcnt 0x1
	v_mul_f64_e32 v[0:1], v[150:151], v[94:95]
	s_delay_alu instid0(VALU_DEP_1) | instskip(SKIP_1) | instid1(VALU_DEP_1)
	v_fma_f64 v[206:207], v[148:149], v[92:93], -v[0:1]
	v_mul_f64_e32 v[0:1], v[148:149], v[94:95]
	v_fma_f64 v[204:205], v[150:151], v[92:93], v[0:1]
	s_wait_loadcnt 0x0
	v_mul_f64_e32 v[0:1], v[146:147], v[142:143]
	s_delay_alu instid0(VALU_DEP_1) | instskip(SKIP_1) | instid1(VALU_DEP_1)
	v_fma_f64 v[210:211], v[144:145], v[140:141], -v[0:1]
	v_mul_f64_e32 v[0:1], v[144:145], v[142:143]
	v_fma_f64 v[208:209], v[146:147], v[140:141], v[0:1]
	s_clause 0x1
	global_load_b128 v[144:147], v[16:17], off offset:736
	global_load_b128 v[148:151], v[16:17], off offset:752
	s_wait_loadcnt_dscnt 0x102
	v_mul_f64_e32 v[0:1], v[162:163], v[146:147]
	s_delay_alu instid0(VALU_DEP_1) | instskip(SKIP_1) | instid1(VALU_DEP_2)
	v_fma_f64 v[214:215], v[160:161], v[144:145], -v[0:1]
	v_mul_f64_e32 v[0:1], v[160:161], v[146:147]
	v_add_f64_e32 v[40:41], v[210:211], v[214:215]
	s_delay_alu instid0(VALU_DEP_2) | instskip(SKIP_2) | instid1(VALU_DEP_2)
	v_fma_f64 v[212:213], v[162:163], v[144:145], v[0:1]
	s_wait_loadcnt 0x0
	v_mul_f64_e32 v[0:1], v[158:159], v[150:151]
	v_add_f64_e32 v[48:49], v[208:209], v[212:213]
	s_delay_alu instid0(VALU_DEP_2) | instskip(SKIP_1) | instid1(VALU_DEP_2)
	v_fma_f64 v[218:219], v[156:157], v[148:149], -v[0:1]
	v_mul_f64_e32 v[0:1], v[156:157], v[150:151]
	v_add_f64_e32 v[38:39], v[206:207], v[218:219]
	s_delay_alu instid0(VALU_DEP_2) | instskip(SKIP_1) | instid1(VALU_DEP_1)
	v_fma_f64 v[216:217], v[158:159], v[148:149], v[0:1]
	v_mul_lo_u16 v0, 0x6d, v184
	v_lshrrev_b16 v0, 8, v0
	s_delay_alu instid0(VALU_DEP_1) | instskip(NEXT) | instid1(VALU_DEP_1)
	v_sub_nc_u16 v1, v110, v0
	v_lshrrev_b16 v1, 1, v1
	s_delay_alu instid0(VALU_DEP_1) | instskip(NEXT) | instid1(VALU_DEP_1)
	v_and_b32_e32 v1, 0x7f, v1
	v_add_nc_u16 v0, v1, v0
	s_delay_alu instid0(VALU_DEP_1) | instskip(NEXT) | instid1(VALU_DEP_1)
	v_lshrrev_b16 v62, 5, v0
	v_mul_lo_u16 v0, v62, 45
	v_add_f64_e32 v[46:47], v[204:205], v[216:217]
	s_delay_alu instid0(VALU_DEP_2) | instskip(NEXT) | instid1(VALU_DEP_1)
	v_sub_nc_u16 v0, v110, v0
	v_and_b32_e32 v63, 0xff, v0
	s_delay_alu instid0(VALU_DEP_1)
	v_mad_co_u64_u32 v[18:19], null, 0x60, v63, s[2:3]
	s_clause 0x1
	global_load_b128 v[156:159], v[18:19], off offset:672
	global_load_b128 v[160:163], v[18:19], off offset:688
	s_wait_loadcnt 0x1
	v_mul_f64_e32 v[0:1], v[106:107], v[158:159]
	s_delay_alu instid0(VALU_DEP_1) | instskip(SKIP_1) | instid1(VALU_DEP_1)
	v_fma_f64 v[186:187], v[104:105], v[156:157], -v[0:1]
	v_mul_f64_e32 v[0:1], v[104:105], v[158:159]
	v_fma_f64 v[184:185], v[106:107], v[156:157], v[0:1]
	s_wait_loadcnt 0x0
	v_mul_f64_e32 v[0:1], v[102:103], v[162:163]
	s_delay_alu instid0(VALU_DEP_1) | instskip(SKIP_1) | instid1(VALU_DEP_1)
	v_fma_f64 v[194:195], v[100:101], v[160:161], -v[0:1]
	v_mul_f64_e32 v[0:1], v[100:101], v[162:163]
	v_fma_f64 v[190:191], v[102:103], v[160:161], v[0:1]
	s_clause 0x1
	global_load_b128 v[100:103], v[18:19], off offset:736
	global_load_b128 v[104:107], v[18:19], off offset:752
	s_wait_loadcnt_dscnt 0x101
	v_mul_f64_e32 v[0:1], v[170:171], v[102:103]
	s_delay_alu instid0(VALU_DEP_1) | instskip(SKIP_1) | instid1(VALU_DEP_2)
	v_fma_f64 v[200:201], v[168:169], v[100:101], -v[0:1]
	v_mul_f64_e32 v[0:1], v[168:169], v[102:103]
	v_add_f64_e32 v[54:55], v[194:195], v[200:201]
	s_delay_alu instid0(VALU_DEP_2) | instskip(SKIP_2) | instid1(VALU_DEP_2)
	v_fma_f64 v[168:169], v[170:171], v[100:101], v[0:1]
	s_wait_loadcnt_dscnt 0x0
	v_mul_f64_e32 v[0:1], v[154:155], v[106:107]
	v_add_f64_e32 v[56:57], v[190:191], v[168:169]
	s_delay_alu instid0(VALU_DEP_2) | instskip(SKIP_1) | instid1(VALU_DEP_2)
	v_fma_f64 v[202:203], v[152:153], v[104:105], -v[0:1]
	v_mul_f64_e32 v[0:1], v[152:153], v[106:107]
	v_add_f64_e32 v[244:245], v[186:187], v[202:203]
	s_delay_alu instid0(VALU_DEP_2) | instskip(SKIP_1) | instid1(VALU_DEP_1)
	v_fma_f64 v[170:171], v[154:155], v[104:105], v[0:1]
	v_mul_lo_u16 v0, 0x6d, v228
	v_lshrrev_b16 v0, 8, v0
	s_delay_alu instid0(VALU_DEP_1) | instskip(NEXT) | instid1(VALU_DEP_1)
	v_sub_nc_u16 v1, v111, v0
	v_lshrrev_b16 v1, 1, v1
	s_delay_alu instid0(VALU_DEP_1) | instskip(NEXT) | instid1(VALU_DEP_1)
	v_and_b32_e32 v1, 0x7f, v1
	v_add_nc_u16 v0, v1, v0
	s_delay_alu instid0(VALU_DEP_1) | instskip(NEXT) | instid1(VALU_DEP_1)
	v_lshrrev_b16 v0, 5, v0
	v_mul_lo_u16 v0, v0, 45
	v_add_f64_e32 v[248:249], v[184:185], v[170:171]
	s_delay_alu instid0(VALU_DEP_2) | instskip(NEXT) | instid1(VALU_DEP_1)
	v_sub_nc_u16 v0, v111, v0
	v_and_b32_e32 v0, 0xff, v0
	s_delay_alu instid0(VALU_DEP_1)
	v_mad_co_u64_u32 v[20:21], null, 0x60, v0, s[2:3]
	scratch_store_b32 off, v0, off offset:612 ; 4-byte Folded Spill
	s_clause 0x1
	global_load_b128 v[4:7], v[20:21], off offset:672
	global_load_b128 v[8:11], v[20:21], off offset:688
	v_add_f64_e32 v[58:59], v[56:57], v[248:249]
	s_wait_loadcnt 0x1
	scratch_store_b128 off, v[4:7], off offset:1396 ; 16-byte Folded Spill
	s_wait_loadcnt 0x0
	scratch_store_b128 off, v[8:11], off offset:1412 ; 16-byte Folded Spill
	s_clause 0x1
	global_load_b128 v[12:15], v[20:21], off offset:736
	global_load_b128 v[28:31], v[20:21], off offset:752
	v_mul_f64_e32 v[0:1], v[74:75], v[6:7]
	v_mul_f64_e32 v[2:3], v[72:73], v[6:7]
	s_delay_alu instid0(VALU_DEP_2) | instskip(NEXT) | instid1(VALU_DEP_2)
	v_fma_f64 v[0:1], v[72:73], v[4:5], -v[0:1]
	v_fma_f64 v[2:3], v[74:75], v[4:5], v[2:3]
	v_mul_f64_e32 v[4:5], v[98:99], v[10:11]
	s_delay_alu instid0(VALU_DEP_1) | instskip(SKIP_1) | instid1(VALU_DEP_1)
	v_fma_f64 v[6:7], v[96:97], v[8:9], -v[4:5]
	v_mul_f64_e32 v[4:5], v[96:97], v[10:11]
	v_fma_f64 v[4:5], v[98:99], v[8:9], v[4:5]
	s_wait_loadcnt 0x1
	scratch_store_b128 off, v[12:15], off offset:1428 ; 16-byte Folded Spill
	s_wait_loadcnt 0x0
	scratch_store_b128 off, v[28:31], off offset:1444 ; 16-byte Folded Spill
	s_clause 0x1
	global_load_b128 v[96:99], v[16:17], off offset:704
	global_load_b128 v[152:155], v[16:17], off offset:720
	v_mul_f64_e32 v[8:9], v[66:67], v[14:15]
	s_delay_alu instid0(VALU_DEP_1) | instskip(SKIP_2) | instid1(VALU_DEP_3)
	v_fma_f64 v[10:11], v[64:65], v[12:13], -v[8:9]
	v_mul_f64_e32 v[8:9], v[64:65], v[14:15]
	v_mul_f64_e32 v[14:15], v[172:173], v[30:31]
	v_add_f64_e32 v[234:235], v[6:7], v[10:11]
	s_delay_alu instid0(VALU_DEP_3) | instskip(SKIP_1) | instid1(VALU_DEP_4)
	v_fma_f64 v[8:9], v[66:67], v[12:13], v[8:9]
	v_mul_f64_e32 v[12:13], v[174:175], v[30:31]
	v_fma_f64 v[14:15], v[174:175], v[28:29], v[14:15]
	v_add_f64_e64 v[6:7], v[6:7], -v[10:11]
	s_delay_alu instid0(VALU_DEP_4) | instskip(NEXT) | instid1(VALU_DEP_4)
	v_add_f64_e32 v[240:241], v[4:5], v[8:9]
	v_fma_f64 v[12:13], v[172:173], v[28:29], -v[12:13]
	s_clause 0x1
	global_load_b128 v[32:35], v[18:19], off offset:704
	global_load_b128 v[28:31], v[18:19], off offset:720
	v_add_f64_e32 v[238:239], v[2:3], v[14:15]
	v_add_f64_e64 v[4:5], v[4:5], -v[8:9]
	v_add_f64_e64 v[2:3], v[2:3], -v[14:15]
	v_add_f64_e32 v[232:233], v[0:1], v[12:13]
	v_add_f64_e64 v[0:1], v[0:1], -v[12:13]
	s_delay_alu instid0(VALU_DEP_2) | instskip(SKIP_2) | instid1(VALU_DEP_1)
	v_add_f64_e64 v[12:13], v[234:235], -v[232:233]
	s_wait_loadcnt 0x3
	v_mul_f64_e32 v[16:17], v[166:167], v[98:99]
	v_fma_f64 v[172:173], v[164:165], v[96:97], -v[16:17]
	v_mul_f64_e32 v[16:17], v[164:165], v[98:99]
	s_delay_alu instid0(VALU_DEP_1) | instskip(SKIP_2) | instid1(VALU_DEP_1)
	v_fma_f64 v[164:165], v[166:167], v[96:97], v[16:17]
	s_wait_loadcnt 0x2
	v_mul_f64_e32 v[16:17], v[134:135], v[154:155]
	v_fma_f64 v[166:167], v[132:133], v[152:153], -v[16:17]
	v_mul_f64_e32 v[16:17], v[132:133], v[154:155]
	s_wait_loadcnt 0x1
	scratch_store_b128 off, v[32:35], off offset:1344 ; 16-byte Folded Spill
	s_wait_loadcnt 0x0
	scratch_store_b128 off, v[28:31], off offset:1312 ; 16-byte Folded Spill
	v_add_f64_e32 v[42:43], v[172:173], v[166:167]
	v_fma_f64 v[174:175], v[134:135], v[152:153], v[16:17]
	v_mul_f64_e32 v[16:17], v[138:139], v[34:35]
	s_delay_alu instid0(VALU_DEP_2) | instskip(NEXT) | instid1(VALU_DEP_2)
	v_add_f64_e32 v[50:51], v[164:165], v[174:175]
	v_fma_f64 v[134:135], v[136:137], v[32:33], -v[16:17]
	v_mul_f64_e32 v[16:17], v[136:137], v[34:35]
	s_delay_alu instid0(VALU_DEP_1) | instskip(SKIP_2) | instid1(VALU_DEP_2)
	v_fma_f64 v[132:133], v[138:139], v[32:33], v[16:17]
	v_mul_f64_e32 v[16:17], v[130:131], v[30:31]
	v_add_f64_e32 v[138:139], v[182:183], v[192:193]
	v_fma_f64 v[136:137], v[128:129], v[28:29], -v[16:17]
	v_mul_f64_e32 v[16:17], v[128:129], v[30:31]
	s_delay_alu instid0(VALU_DEP_2) | instskip(NEXT) | instid1(VALU_DEP_2)
	v_add_f64_e32 v[246:247], v[134:135], v[136:137]
	v_fma_f64 v[128:129], v[130:131], v[28:29], v[16:17]
	s_clause 0x1
	global_load_b128 v[28:31], v[20:21], off offset:704
	global_load_b128 v[32:35], v[20:21], off offset:720
	v_add_f64_e32 v[130:131], v[178:179], v[198:199]
	v_add_f64_e32 v[250:251], v[132:133], v[128:129]
	s_delay_alu instid0(VALU_DEP_1) | instskip(SKIP_1) | instid1(VALU_DEP_2)
	v_add_f64_e32 v[254:255], v[250:251], v[58:59]
	v_add_f64_e32 v[58:59], v[234:235], v[232:233]
	;; [unrolled: 1-line block ×3, first 2 shown]
	s_wait_loadcnt 0x1
	v_mul_f64_e32 v[16:17], v[126:127], v[30:31]
	s_wait_loadcnt 0x0
	v_mul_f64_e32 v[20:21], v[86:87], v[34:35]
	s_clause 0x1
	scratch_store_b128 off, v[28:31], off offset:1460
	scratch_store_b128 off, v[32:35], off offset:1476
	global_wb scope:SCOPE_SE
	s_wait_storecnt 0x0
	s_barrier_signal -1
	s_barrier_wait -1
	global_inv scope:SCOPE_SE
	v_fma_f64 v[18:19], v[124:125], v[28:29], -v[16:17]
	v_mul_f64_e32 v[16:17], v[124:125], v[30:31]
	v_add_f64_e32 v[30:31], v[176:177], v[196:197]
	s_delay_alu instid0(VALU_DEP_2)
	v_fma_f64 v[16:17], v[126:127], v[28:29], v[16:17]
	v_fma_f64 v[126:127], v[84:85], v[32:33], -v[20:21]
	v_mul_f64_e32 v[20:21], v[84:85], v[34:35]
	v_add_f64_e32 v[84:85], v[40:41], v[38:39]
	v_add_f64_e32 v[34:35], v[220:221], v[224:225]
	;; [unrolled: 1-line block ×4, first 2 shown]
	v_fma_f64 v[124:125], v[86:87], v[32:33], v[20:21]
	v_add_f64_e32 v[44:45], v[42:43], v[84:85]
	v_add_f64_e32 v[84:85], v[48:49], v[46:47]
	;; [unrolled: 1-line block ×4, first 2 shown]
	v_add_f64_e64 v[10:11], v[126:127], -v[18:19]
	v_add_f64_e64 v[18:19], v[240:241], -v[238:239]
	v_add_f64_e32 v[228:229], v[236:237], v[58:59]
	v_add_f64_e32 v[242:243], v[16:17], v[124:125]
	;; [unrolled: 1-line block ×8, first 2 shown]
	v_add_f64_e64 v[8:9], v[124:125], -v[16:17]
	v_add_f64_e64 v[14:15], v[232:233], -v[236:237]
	v_add_f64_e64 v[16:17], v[236:237], -v[234:235]
	v_add_f64_e32 v[230:231], v[242:243], v[58:59]
	v_add_f64_e64 v[58:59], v[226:227], -v[222:223]
	v_add_f64_e32 v[252:253], v[246:247], v[84:85]
	v_add_f64_e32 v[84:85], v[22:23], v[228:229]
	v_add_f64_e64 v[22:23], v[182:183], -v[192:193]
	v_add_f64_e32 v[36:37], v[34:35], v[36:37]
	v_add_f64_e64 v[182:183], v[178:179], -v[198:199]
	v_add_f64_e64 v[192:193], v[138:139], -v[130:131]
	;; [unrolled: 1-line block ×4, first 2 shown]
	v_add_f64_e32 v[120:121], v[120:121], v[28:29]
	v_add_f64_e32 v[118:119], v[118:119], v[52:53]
	v_fma_f64 v[44:45], v[44:45], s[10:11], v[116:117]
	v_add_f64_e32 v[86:87], v[24:25], v[230:231]
	v_add_f64_e64 v[24:25], v[180:181], -v[188:189]
	v_add_f64_e64 v[180:181], v[224:225], -v[220:221]
	;; [unrolled: 1-line block ×6, first 2 shown]
	v_add_f64_e32 v[122:123], v[122:123], v[36:37]
	v_add_f64_e32 v[176:177], v[58:59], v[22:23]
	v_add_f64_e64 v[198:199], v[22:23], -v[182:183]
	v_add_f64_e64 v[30:31], v[30:31], -v[34:35]
	;; [unrolled: 1-line block ×3, first 2 shown]
	v_mul_f64_e32 v[20:21], s[24:25], v[20:21]
	v_fma_f64 v[28:29], v[28:29], s[10:11], v[120:121]
	v_fma_f64 v[52:53], v[52:53], s[10:11], v[118:119]
	v_add_f64_e32 v[112:113], v[112:113], v[252:253]
	v_add_f64_e32 v[22:23], v[180:181], v[24:25]
	v_add_f64_e64 v[220:221], v[180:181], -v[24:25]
	v_add_f64_e64 v[222:223], v[24:25], -v[188:189]
	v_mul_f64_e32 v[24:25], s[14:15], v[32:33]
	v_mul_f64_e32 v[64:65], s[22:23], v[178:179]
	v_fma_f64 v[36:37], v[36:37], s[10:11], v[122:123]
	v_add_f64_e32 v[224:225], v[176:177], v[182:183]
	v_add_f64_e64 v[58:59], v[188:189], -v[180:181]
	v_mul_f64_e32 v[30:31], s[24:25], v[30:31]
	v_fma_f64 v[130:131], v[192:193], s[26:27], -v[20:21]
	v_fma_f64 v[20:21], v[138:139], s[14:15], v[20:21]
	v_add_f64_e32 v[226:227], v[22:23], v[188:189]
	v_mul_f64_e32 v[66:67], s[22:23], v[220:221]
	v_mul_f64_e32 v[22:23], s[14:15], v[138:139]
	v_fma_f64 v[24:25], v[196:197], s[18:19], -v[24:25]
	v_fma_f64 v[176:177], v[198:199], s[20:21], -v[64:65]
	v_mul_f64_e32 v[70:71], s[20:21], v[222:223]
	v_fma_f64 v[180:181], v[196:197], s[26:27], -v[30:31]
	v_fma_f64 v[30:31], v[32:33], s[14:15], v[30:31]
	v_add_f64_e32 v[130:131], v[130:131], v[28:29]
	v_add_f64_e32 v[20:21], v[20:21], v[28:29]
	v_fma_f64 v[22:23], v[192:193], s[18:19], -v[22:23]
	v_add_f64_e32 v[68:69], v[24:25], v[36:37]
	v_fma_f64 v[178:179], v[224:225], s[12:13], v[176:177]
	v_fma_f64 v[176:177], v[222:223], s[20:21], -v[66:67]
	v_fma_f64 v[70:71], v[58:59], s[30:31], -v[70:71]
	v_fma_f64 v[58:59], v[58:59], s[28:29], v[66:67]
	v_add_f64_e32 v[188:189], v[180:181], v[36:37]
	v_add_f64_e32 v[220:221], v[22:23], v[28:29]
	;; [unrolled: 1-line block ×4, first 2 shown]
	v_add_f64_e64 v[178:179], v[68:69], -v[178:179]
	v_mul_f64_e32 v[68:69], s[20:21], v[198:199]
	v_fma_f64 v[176:177], v[226:227], s[12:13], v[176:177]
	v_fma_f64 v[70:71], v[226:227], s[12:13], v[70:71]
	v_add_f64_e64 v[30:31], v[206:207], -v[218:219]
	v_add_f64_e64 v[36:37], v[204:205], -v[216:217]
	v_fma_f64 v[68:69], v[34:35], s[30:31], -v[68:69]
	v_fma_f64 v[34:35], v[34:35], s[28:29], v[64:65]
	v_add_f64_e64 v[22:23], v[220:221], -v[176:177]
	v_add_f64_e32 v[176:177], v[176:177], v[220:221]
	v_add_f64_e32 v[180:181], v[70:71], v[130:131]
	v_add_f64_e64 v[196:197], v[130:131], -v[70:71]
	v_add_f64_e64 v[64:65], v[48:49], -v[46:47]
	v_add_f64_e64 v[48:49], v[50:51], -v[48:49]
	v_fma_f64 v[68:69], v[224:225], s[12:13], v[68:69]
	v_fma_f64 v[32:33], v[224:225], s[12:13], v[34:35]
	;; [unrolled: 1-line block ×3, first 2 shown]
	v_add_f64_e64 v[58:59], v[40:41], -v[38:39]
	v_add_f64_e64 v[40:41], v[42:43], -v[40:41]
	;; [unrolled: 1-line block ×6, first 2 shown]
	v_add_f64_e32 v[220:221], v[34:35], v[20:21]
	v_add_f64_e64 v[224:225], v[20:21], -v[34:35]
	v_add_f64_e32 v[226:227], v[32:33], v[28:29]
	v_add_f64_e64 v[20:21], v[210:211], -v[214:215]
	v_add_f64_e64 v[28:29], v[166:167], -v[172:173]
	v_add_f64_e32 v[198:199], v[68:69], v[188:189]
	v_add_f64_e64 v[32:33], v[208:209], -v[212:213]
	v_add_f64_e64 v[34:35], v[174:175], -v[164:165]
	v_mul_f64_e32 v[138:139], s[14:15], v[40:41]
	v_mul_f64_e32 v[164:165], s[14:15], v[48:49]
	v_add_f64_e64 v[68:69], v[28:29], -v[20:21]
	v_add_f64_e32 v[66:67], v[28:29], v[20:21]
	v_add_f64_e64 v[20:21], v[20:21], -v[30:31]
	v_add_f64_e64 v[130:131], v[34:35], -v[32:33]
	v_add_f64_e32 v[70:71], v[34:35], v[32:33]
	v_add_f64_e64 v[32:33], v[32:33], -v[36:37]
	v_add_f64_e64 v[28:29], v[30:31], -v[28:29]
	v_fma_f64 v[138:139], v[58:59], s[18:19], -v[138:139]
	v_fma_f64 v[164:165], v[64:65], s[18:19], -v[164:165]
	v_mul_f64_e32 v[68:69], s[22:23], v[68:69]
	v_add_f64_e32 v[66:67], v[66:67], v[30:31]
	v_add_f64_e64 v[30:31], v[36:37], -v[34:35]
	v_mul_f64_e32 v[130:131], s[22:23], v[130:131]
	v_add_f64_e32 v[70:71], v[70:71], v[36:37]
	v_mul_f64_e32 v[34:35], s[24:25], v[38:39]
	v_mul_f64_e32 v[36:37], s[24:25], v[42:43]
	v_add_f64_e32 v[138:139], v[138:139], v[44:45]
	v_add_f64_e32 v[188:189], v[164:165], v[52:53]
	v_fma_f64 v[166:167], v[20:21], s[20:21], -v[68:69]
	v_mul_f64_e32 v[20:21], s[20:21], v[20:21]
	v_fma_f64 v[38:39], v[58:59], s[26:27], -v[34:35]
	v_fma_f64 v[42:43], v[64:65], s[26:27], -v[36:37]
	v_fma_f64 v[58:59], v[252:253], s[10:11], v[112:113]
	v_fma_f64 v[64:65], v[254:255], s[10:11], v[114:115]
	;; [unrolled: 1-line block ×3, first 2 shown]
	v_fma_f64 v[166:167], v[32:33], s[20:21], -v[130:131]
	v_mul_f64_e32 v[32:33], s[20:21], v[32:33]
	v_fma_f64 v[20:21], v[28:29], s[30:31], -v[20:21]
	v_add_f64_e32 v[38:39], v[38:39], v[44:45]
	v_add_f64_e32 v[42:43], v[42:43], v[52:53]
	v_fma_f64 v[172:173], v[70:71], s[12:13], v[166:167]
	v_fma_f64 v[32:33], v[30:31], s[30:31], -v[32:33]
	v_fma_f64 v[20:21], v[66:67], s[12:13], v[20:21]
	v_add_f64_e32 v[166:167], v[174:175], v[188:189]
	v_add_f64_e64 v[174:175], v[188:189], -v[174:175]
	v_add_f64_e64 v[164:165], v[138:139], -v[172:173]
	v_fma_f64 v[32:33], v[70:71], s[12:13], v[32:33]
	v_add_f64_e64 v[206:207], v[42:43], -v[20:21]
	v_add_f64_e32 v[210:211], v[20:21], v[42:43]
	v_fma_f64 v[20:21], v[28:29], s[28:29], v[68:69]
	v_fma_f64 v[28:29], v[30:31], s[28:29], v[130:131]
	;; [unrolled: 1-line block ×3, first 2 shown]
	v_add_f64_e64 v[34:35], v[128:129], -v[132:133]
	v_add_f64_e64 v[40:41], v[246:247], -v[54:55]
	;; [unrolled: 1-line block ×3, first 2 shown]
	v_add_f64_e32 v[172:173], v[172:173], v[138:139]
	v_add_f64_e32 v[204:205], v[32:33], v[38:39]
	v_add_f64_e64 v[208:209], v[38:39], -v[32:33]
	v_fma_f64 v[32:33], v[48:49], s[14:15], v[36:37]
	v_fma_f64 v[20:21], v[66:67], s[12:13], v[20:21]
	;; [unrolled: 1-line block ×3, first 2 shown]
	v_add_f64_e32 v[30:31], v[30:31], v[44:45]
	v_add_f64_e64 v[36:37], v[184:185], -v[170:171]
	v_add_f64_e64 v[44:45], v[250:251], -v[56:57]
	;; [unrolled: 1-line block ×3, first 2 shown]
	v_mul_f64_e32 v[54:55], s[14:15], v[40:41]
	v_add_f64_e32 v[32:33], v[32:33], v[52:53]
	v_add_f64_e32 v[212:213], v[28:29], v[30:31]
	v_add_f64_e64 v[216:217], v[30:31], -v[28:29]
	v_add_f64_e64 v[28:29], v[136:137], -v[134:135]
	v_add_f64_e64 v[30:31], v[186:187], -v[202:203]
	v_mul_f64_e32 v[56:57], s[14:15], v[44:45]
	v_fma_f64 v[54:55], v[38:39], s[18:19], -v[54:55]
	v_add_f64_e64 v[214:215], v[32:33], -v[20:21]
	v_add_f64_e32 v[218:219], v[20:21], v[32:33]
	v_add_f64_e64 v[20:21], v[194:195], -v[200:201]
	v_add_f64_e64 v[32:33], v[190:191], -v[168:169]
	v_fma_f64 v[56:57], v[42:43], s[18:19], -v[56:57]
	v_add_f64_e32 v[54:55], v[54:55], v[58:59]
	s_delay_alu instid0(VALU_DEP_4) | instskip(NEXT) | instid1(VALU_DEP_4)
	v_add_f64_e64 v[48:49], v[28:29], -v[20:21]
	v_add_f64_e64 v[52:53], v[34:35], -v[32:33]
	v_add_f64_e32 v[46:47], v[28:29], v[20:21]
	v_add_f64_e64 v[20:21], v[20:21], -v[30:31]
	v_add_f64_e32 v[50:51], v[34:35], v[32:33]
	;; [unrolled: 2-line block ×3, first 2 shown]
	v_add_f64_e64 v[28:29], v[30:31], -v[28:29]
	v_mul_f64_e32 v[48:49], s[22:23], v[48:49]
	v_mul_f64_e32 v[52:53], s[22:23], v[52:53]
	v_add_f64_e32 v[46:47], v[46:47], v[30:31]
	v_add_f64_e64 v[30:31], v[36:37], -v[34:35]
	v_add_f64_e32 v[50:51], v[50:51], v[36:37]
	v_fma_f64 v[66:67], v[20:21], s[20:21], -v[48:49]
	v_fma_f64 v[68:69], v[32:33], s[20:21], -v[52:53]
	v_mul_f64_e32 v[20:21], s[20:21], v[20:21]
	v_mul_f64_e32 v[32:33], s[20:21], v[32:33]
	s_delay_alu instid0(VALU_DEP_4) | instskip(NEXT) | instid1(VALU_DEP_4)
	v_fma_f64 v[66:67], v[46:47], s[12:13], v[66:67]
	v_fma_f64 v[68:69], v[50:51], s[12:13], v[68:69]
	s_delay_alu instid0(VALU_DEP_4) | instskip(NEXT) | instid1(VALU_DEP_4)
	v_fma_f64 v[20:21], v[28:29], s[30:31], -v[20:21]
	v_fma_f64 v[32:33], v[30:31], s[30:31], -v[32:33]
	s_delay_alu instid0(VALU_DEP_4) | instskip(NEXT) | instid1(VALU_DEP_4)
	v_add_f64_e32 v[130:131], v[66:67], v[56:57]
	v_add_f64_e64 v[128:129], v[54:55], -v[68:69]
	v_add_f64_e32 v[132:133], v[68:69], v[54:55]
	v_add_f64_e64 v[134:135], v[56:57], -v[66:67]
	v_add_f64_e64 v[54:55], v[244:245], -v[246:247]
	;; [unrolled: 1-line block ×3, first 2 shown]
	v_fma_f64 v[20:21], v[46:47], s[12:13], v[20:21]
	v_fma_f64 v[32:33], v[50:51], s[12:13], v[32:33]
	s_delay_alu instid0(VALU_DEP_4) | instskip(NEXT) | instid1(VALU_DEP_4)
	v_mul_f64_e32 v[34:35], s[24:25], v[54:55]
	v_mul_f64_e32 v[36:37], s[24:25], v[56:57]
	s_delay_alu instid0(VALU_DEP_2) | instskip(NEXT) | instid1(VALU_DEP_2)
	v_fma_f64 v[38:39], v[38:39], s[26:27], -v[34:35]
	v_fma_f64 v[42:43], v[42:43], s[26:27], -v[36:37]
	s_delay_alu instid0(VALU_DEP_2) | instskip(NEXT) | instid1(VALU_DEP_2)
	v_add_f64_e32 v[38:39], v[38:39], v[58:59]
	v_add_f64_e32 v[42:43], v[42:43], v[64:65]
	s_delay_alu instid0(VALU_DEP_2) | instskip(NEXT) | instid1(VALU_DEP_2)
	v_add_f64_e32 v[136:137], v[32:33], v[38:39]
	v_add_f64_e64 v[138:139], v[42:43], -v[20:21]
	v_add_f64_e64 v[168:169], v[38:39], -v[32:33]
	v_add_f64_e32 v[170:171], v[20:21], v[42:43]
	v_fma_f64 v[20:21], v[28:29], s[28:29], v[48:49]
	v_fma_f64 v[32:33], v[44:45], s[14:15], v[36:37]
	;; [unrolled: 1-line block ×4, first 2 shown]
	s_delay_alu instid0(VALU_DEP_4) | instskip(NEXT) | instid1(VALU_DEP_4)
	v_fma_f64 v[20:21], v[46:47], s[12:13], v[20:21]
	v_add_f64_e32 v[32:33], v[32:33], v[64:65]
	s_delay_alu instid0(VALU_DEP_4) | instskip(NEXT) | instid1(VALU_DEP_4)
	v_fma_f64 v[28:29], v[50:51], s[12:13], v[28:29]
	v_add_f64_e32 v[30:31], v[30:31], v[58:59]
	s_delay_alu instid0(VALU_DEP_3) | instskip(SKIP_3) | instid1(VALU_DEP_4)
	v_add_f64_e64 v[186:187], v[32:33], -v[20:21]
	v_add_f64_e32 v[190:191], v[20:21], v[32:33]
	s_wait_alu 0xf1ff
	v_cndmask_b32_e64 v20, 0, 0x13b, s1
	v_add_f64_e32 v[184:185], v[28:29], v[30:31]
	v_add_f64_e64 v[188:189], v[30:31], -v[28:29]
	v_add_f64_e64 v[28:29], v[8:9], -v[4:5]
	s_delay_alu instid0(VALU_DEP_4)
	v_add_lshl_u32 v20, v27, v20, 4
	ds_store_b128 v20, v[120:123]
	ds_store_b128 v20, v[220:223] offset:720
	ds_store_b128 v20, v[180:183] offset:1440
	;; [unrolled: 1-line block ×5, first 2 shown]
	v_add_f64_e32 v[24:25], v[10:11], v[6:7]
	v_add_f64_e64 v[26:27], v[10:11], -v[6:7]
	v_add_f64_e64 v[10:11], v[0:1], -v[10:11]
	;; [unrolled: 1-line block ×3, first 2 shown]
	scratch_store_b32 off, v20, off offset:1384 ; 4-byte Folded Spill
	ds_store_b128 v20, v[224:227] offset:4320
	v_and_b32_e32 v20, 0xffff, v60
	v_add_f64_e64 v[22:23], v[242:243], -v[240:241]
	s_delay_alu instid0(VALU_DEP_2) | instskip(NEXT) | instid1(VALU_DEP_1)
	v_mul_u32_u24_e32 v20, 0x13b, v20
	v_add_lshl_u32 v20, v20, v61, 4
	ds_store_b128 v20, v[116:119]
	ds_store_b128 v20, v[212:215] offset:720
	ds_store_b128 v20, v[204:207] offset:1440
	;; [unrolled: 1-line block ×5, first 2 shown]
	scratch_store_b32 off, v20, off offset:1380 ; 4-byte Folded Spill
	ds_store_b128 v20, v[216:219] offset:4320
	v_and_b32_e32 v20, 0xffff, v62
	s_delay_alu instid0(VALU_DEP_1) | instskip(NEXT) | instid1(VALU_DEP_1)
	v_mul_u32_u24_e32 v20, 0x13b, v20
	v_add_lshl_u32 v20, v20, v63, 4
	ds_store_b128 v20, v[112:115]
	ds_store_b128 v20, v[184:187] offset:720
	ds_store_b128 v20, v[136:139] offset:1440
	;; [unrolled: 1-line block ×5, first 2 shown]
	v_add_f64_e32 v[0:1], v[24:25], v[0:1]
	v_add_f64_e32 v[24:25], v[8:9], v[4:5]
	v_add_f64_e64 v[8:9], v[2:3], -v[8:9]
	v_add_f64_e64 v[4:5], v[4:5], -v[2:3]
	scratch_store_b32 off, v20, off offset:1376 ; 4-byte Folded Spill
	ds_store_b128 v20, v[188:191] offset:4320
	v_add_f64_e64 v[20:21], v[238:239], -v[242:243]
	v_add_f64_e32 v[24:25], v[24:25], v[2:3]
	v_mul_f64_e32 v[2:3], s[24:25], v[14:15]
	v_mul_f64_e32 v[14:15], s[14:15], v[16:17]
	s_delay_alu instid0(VALU_DEP_2) | instskip(NEXT) | instid1(VALU_DEP_2)
	v_fma_f64 v[16:17], v[16:17], s[14:15], v[2:3]
	v_fma_f64 v[30:31], v[12:13], s[18:19], -v[14:15]
	v_fma_f64 v[12:13], v[12:13], s[26:27], -v[2:3]
	v_mul_f64_e32 v[2:3], s[22:23], v[26:27]
	v_mul_f64_e32 v[14:15], s[20:21], v[6:7]
	;; [unrolled: 1-line block ×3, first 2 shown]
	s_delay_alu instid0(VALU_DEP_3) | instskip(SKIP_1) | instid1(VALU_DEP_4)
	v_fma_f64 v[6:7], v[6:7], s[20:21], -v[2:3]
	v_fma_f64 v[2:3], v[10:11], s[28:29], v[2:3]
	v_fma_f64 v[10:11], v[10:11], s[30:31], -v[14:15]
	v_mul_f64_e32 v[14:15], s[22:23], v[28:29]
	s_delay_alu instid0(VALU_DEP_3) | instskip(NEXT) | instid1(VALU_DEP_2)
	v_fma_f64 v[2:3], v[0:1], s[12:13], v[2:3]
	v_fma_f64 v[28:29], v[4:5], s[20:21], -v[14:15]
	v_fma_f64 v[4:5], v[8:9], s[28:29], v[14:15]
	v_mul_f64_e32 v[14:15], s[24:25], v[20:21]
	v_fma_f64 v[8:9], v[8:9], s[30:31], -v[26:27]
	v_mul_f64_e32 v[20:21], s[14:15], v[22:23]
	s_delay_alu instid0(VALU_DEP_4) | instskip(NEXT) | instid1(VALU_DEP_4)
	v_fma_f64 v[4:5], v[24:25], s[12:13], v[4:5]
	v_fma_f64 v[26:27], v[22:23], s[14:15], v[14:15]
	;; [unrolled: 1-line block ×3, first 2 shown]
	s_delay_alu instid0(VALU_DEP_4)
	v_fma_f64 v[20:21], v[18:19], s[18:19], -v[20:21]
	v_fma_f64 v[32:33], v[18:19], s[26:27], -v[14:15]
	v_fma_f64 v[14:15], v[0:1], s[12:13], v[10:11]
	v_fma_f64 v[18:19], v[0:1], s[12:13], v[6:7]
	v_fma_f64 v[0:1], v[24:25], s[12:13], v[28:29]
	v_fma_f64 v[6:7], v[24:25], s[12:13], v[8:9]
	v_add_f64_e32 v[10:11], v[12:13], v[22:23]
	v_add_f64_e32 v[12:13], v[16:17], v[22:23]
	v_fma_f64 v[16:17], v[230:231], s[10:11], v[86:87]
	v_add_f64_e32 v[8:9], v[30:31], v[22:23]
	s_delay_alu instid0(VALU_DEP_4) | instskip(NEXT) | instid1(VALU_DEP_4)
	v_add_f64_e64 v[172:173], v[10:11], -v[6:7]
	v_add_f64_e64 v[24:25], v[12:13], -v[4:5]
	s_delay_alu instid0(VALU_DEP_4) | instskip(SKIP_3) | instid1(VALU_DEP_4)
	v_add_f64_e32 v[22:23], v[20:21], v[16:17]
	v_add_f64_e32 v[20:21], v[32:33], v[16:17]
	;; [unrolled: 1-line block ×4, first 2 shown]
	v_add_f64_e64 v[170:171], v[22:23], -v[18:19]
	s_delay_alu instid0(VALU_DEP_4) | instskip(NEXT) | instid1(VALU_DEP_4)
	v_add_f64_e32 v[174:175], v[14:15], v[20:21]
	v_add_f64_e32 v[26:27], v[2:3], v[16:17]
	scratch_store_b128 off, v[24:27], off offset:12 ; 16-byte Folded Spill
	s_and_saveexec_b32 s1, s0
	s_cbranch_execz .LBB0_15
; %bb.14:
	v_add_f64_e32 v[18:19], v[18:19], v[22:23]
	v_add_f64_e64 v[22:23], v[16:17], -v[2:3]
	v_add_f64_e64 v[16:17], v[8:9], -v[0:1]
	scratch_load_b32 v0, off, off offset:612 ; 4-byte Folded Reload
	v_add_f64_e64 v[14:15], v[20:21], -v[14:15]
	v_add_f64_e32 v[20:21], v[4:5], v[12:13]
	v_add_f64_e32 v[12:13], v[6:7], v[10:11]
	s_wait_loadcnt 0x0
	v_lshlrev_b32_e32 v0, 4, v0
	ds_store_b128 v0, v[168:171] offset:23040
	ds_store_b128 v0, v[172:175] offset:23760
	;; [unrolled: 1-line block ×6, first 2 shown]
	scratch_load_b128 v[1:4], off, off offset:12 ; 16-byte Folded Reload
	s_wait_loadcnt 0x0
	ds_store_b128 v0, v[1:4] offset:24480
.LBB0_15:
	s_wait_alu 0xfffe
	s_or_b32 exec_lo, exec_lo, s1
	scratch_load_b32 v0, off, off           ; 4-byte Folded Reload
	v_lshlrev_b32_e32 v1, 6, v109
	v_lshlrev_b32_e32 v2, 6, v110
	global_wb scope:SCOPE_SE
	s_wait_storecnt 0x0
	s_wait_loadcnt_dscnt 0x0
	s_barrier_signal -1
	s_barrier_wait -1
	global_inv scope:SCOPE_SE
	s_mov_b32 s12, 0x134454ff
	s_mov_b32 s13, 0x3fee6f0e
	;; [unrolled: 1-line block ×3, first 2 shown]
	s_wait_alu 0xfffe
	s_mov_b32 s14, s12
	s_mov_b32 s11, 0xbfe2cf23
	;; [unrolled: 1-line block ×4, first 2 shown]
	v_lshlrev_b32_e32 v0, 6, v0
	s_clause 0xb
	global_load_b128 v[48:51], v0, s[2:3] offset:4992
	global_load_b128 v[64:67], v1, s[2:3] offset:4992
	;; [unrolled: 1-line block ×12, first 2 shown]
	ds_load_b128 v[120:123], v108 offset:5040
	ds_load_b128 v[116:119], v108 offset:6048
	;; [unrolled: 1-line block ×10, first 2 shown]
	s_wait_loadcnt_dscnt 0xa08
	v_mul_f64_e32 v[28:29], v[118:119], v[66:67]
	v_mul_f64_e32 v[30:31], v[116:117], v[66:67]
	s_wait_loadcnt_dscnt 0x805
	v_mul_f64_e32 v[36:37], v[6:7], v[62:63]
	v_mul_f64_e32 v[38:39], v[4:5], v[62:63]
	;; [unrolled: 3-line block ×3, first 2 shown]
	v_mul_f64_e32 v[40:41], v[10:11], v[78:79]
	v_mul_f64_e32 v[42:43], v[8:9], v[78:79]
	;; [unrolled: 1-line block ×5, first 2 shown]
	scratch_store_b128 off, v[48:51], off offset:636 ; 16-byte Folded Spill
	s_wait_loadcnt 0x5
	scratch_store_b128 off, v[56:59], off offset:668 ; 16-byte Folded Spill
	s_wait_dscnt 0x2
	v_mul_f64_e32 v[50:51], v[16:17], v[58:59]
	v_mul_f64_e32 v[34:35], v[112:113], v[54:55]
	s_clause 0x2
	scratch_store_b128 off, v[64:67], off offset:704
	scratch_store_b128 off, v[52:55], off offset:684
	;; [unrolled: 1-line block ×3, first 2 shown]
	s_wait_loadcnt 0x4
	scratch_store_b128 off, v[128:131], off offset:780 ; 16-byte Folded Spill
	s_wait_loadcnt 0x3
	scratch_store_b128 off, v[72:75], off offset:740 ; 16-byte Folded Spill
	;; [unrolled: 2-line block ×4, first 2 shown]
	v_fma_f64 v[28:29], v[116:117], v[64:65], -v[28:29]
	v_fma_f64 v[30:31], v[118:119], v[64:65], v[30:31]
	v_fma_f64 v[36:37], v[4:5], v[60:61], -v[36:37]
	v_fma_f64 v[38:39], v[6:7], v[60:61], v[38:39]
	ds_load_b128 v[4:7], v108 offset:16128
	v_fma_f64 v[44:45], v[12:13], v[84:85], -v[44:45]
	ds_load_b128 v[116:119], v108 offset:21168
	v_fma_f64 v[46:47], v[14:15], v[84:85], v[46:47]
	v_fma_f64 v[40:41], v[8:9], v[76:77], -v[40:41]
	v_fma_f64 v[24:25], v[120:121], v[48:49], -v[24:25]
	v_fma_f64 v[26:27], v[122:123], v[48:49], v[26:27]
	v_mul_f64_e32 v[48:49], v[18:19], v[58:59]
	ds_load_b128 v[120:123], v108 offset:20160
	v_fma_f64 v[50:51], v[18:19], v[56:57], v[50:51]
	v_fma_f64 v[42:43], v[10:11], v[76:77], v[42:43]
	ds_load_b128 v[8:11], v108 offset:17136
	v_fma_f64 v[32:33], v[112:113], v[52:53], -v[32:33]
	v_fma_f64 v[34:35], v[114:115], v[52:53], v[34:35]
	v_lshlrev_b32_e32 v18, 6, v111
	s_wait_dscnt 0x3
	v_mul_f64_e32 v[12:13], v[6:7], v[74:75]
	v_mul_f64_e32 v[14:15], v[4:5], v[74:75]
	s_wait_dscnt 0x1
	v_mul_f64_e32 v[52:53], v[120:121], v[130:131]
	v_mul_f64_e32 v[54:55], v[122:123], v[130:131]
	v_add_f64_e64 v[182:183], v[36:37], -v[44:45]
	v_add_f64_e64 v[178:179], v[38:39], -v[46:47]
	v_fma_f64 v[48:49], v[16:17], v[56:57], -v[48:49]
	v_mul_f64_e32 v[16:17], v[118:119], v[70:71]
	v_fma_f64 v[56:57], v[4:5], v[72:73], -v[12:13]
	v_mul_f64_e32 v[4:5], v[116:117], v[70:71]
	v_fma_f64 v[58:59], v[6:7], v[72:73], v[14:15]
	s_wait_dscnt 0x0
	v_mul_f64_e32 v[6:7], v[10:11], v[138:139]
	v_fma_f64 v[52:53], v[122:123], v[128:129], v[52:53]
	v_fma_f64 v[54:55], v[120:121], v[128:129], -v[54:55]
	v_fma_f64 v[64:65], v[116:117], v[68:69], -v[16:17]
	v_fma_f64 v[66:67], v[118:119], v[68:69], v[4:5]
	v_mul_f64_e32 v[4:5], v[8:9], v[138:139]
	v_fma_f64 v[68:69], v[8:9], v[136:137], -v[6:7]
	v_add_f64_e64 v[176:177], v[26:27], -v[52:53]
	v_add_f64_e64 v[180:181], v[24:25], -v[54:55]
	s_delay_alu instid0(VALU_DEP_4)
	v_fma_f64 v[70:71], v[10:11], v[136:137], v[4:5]
	ds_load_b128 v[4:7], v108 offset:22176
	ds_load_b128 v[8:11], v108 offset:23184
	s_wait_loadcnt 0x0
	scratch_store_b128 off, v[132:135], off offset:796 ; 16-byte Folded Spill
	s_clause 0x1
	global_load_b128 v[120:123], v18, s[2:3] offset:4992
	global_load_b128 v[112:115], v18, s[2:3] offset:5008
	s_wait_dscnt 0x1
	v_mul_f64_e32 v[12:13], v[6:7], v[134:135]
	s_delay_alu instid0(VALU_DEP_1) | instskip(SKIP_1) | instid1(VALU_DEP_1)
	v_fma_f64 v[109:110], v[4:5], v[132:133], -v[12:13]
	v_mul_f64_e32 v[4:5], v[4:5], v[134:135]
	v_fma_f64 v[216:217], v[6:7], v[132:133], v[4:5]
	ds_load_b128 v[4:7], v108 offset:8064
	ds_load_b128 v[12:15], v108 offset:9072
	s_wait_loadcnt_dscnt 0x101
	v_mul_f64_e32 v[16:17], v[6:7], v[122:123]
	s_delay_alu instid0(VALU_DEP_1) | instskip(SKIP_1) | instid1(VALU_DEP_1)
	v_fma_f64 v[232:233], v[4:5], v[120:121], -v[16:17]
	v_mul_f64_e32 v[4:5], v[4:5], v[122:123]
	v_fma_f64 v[234:235], v[6:7], v[120:121], v[4:5]
	s_wait_loadcnt 0x0
	v_mul_f64_e32 v[4:5], v[126:127], v[114:115]
	s_delay_alu instid0(VALU_DEP_1) | instskip(SKIP_1) | instid1(VALU_DEP_1)
	v_fma_f64 v[236:237], v[124:125], v[112:113], -v[4:5]
	v_mul_f64_e32 v[4:5], v[124:125], v[114:115]
	v_fma_f64 v[238:239], v[126:127], v[112:113], v[4:5]
	s_clause 0x1
	global_load_b128 v[124:127], v18, s[2:3] offset:5024
	global_load_b128 v[116:119], v18, s[2:3] offset:5040
	ds_load_b128 v[4:7], v108 offset:18144
	ds_load_b128 v[16:19], v108 offset:19152
	s_wait_loadcnt_dscnt 0x101
	v_mul_f64_e32 v[128:129], v[6:7], v[126:127]
	s_delay_alu instid0(VALU_DEP_1) | instskip(SKIP_1) | instid1(VALU_DEP_1)
	v_fma_f64 v[240:241], v[4:5], v[124:125], -v[128:129]
	v_mul_f64_e32 v[4:5], v[4:5], v[126:127]
	v_fma_f64 v[242:243], v[6:7], v[124:125], v[4:5]
	s_wait_loadcnt 0x0
	v_mul_f64_e32 v[4:5], v[10:11], v[118:119]
	s_delay_alu instid0(VALU_DEP_1) | instskip(SKIP_1) | instid1(VALU_DEP_1)
	v_fma_f64 v[244:245], v[8:9], v[116:117], -v[4:5]
	v_mul_f64_e32 v[4:5], v[8:9], v[118:119]
	v_fma_f64 v[246:247], v[10:11], v[116:117], v[4:5]
	scratch_load_b32 v4, off, off offset:1388 th:TH_LOAD_LU ; 4-byte Folded Reload
	s_wait_loadcnt 0x0
	v_lshlrev_b32_e32 v6, 6, v4
	s_clause 0x3
	global_load_b128 v[136:139], v6, s[2:3] offset:4992
	global_load_b128 v[128:131], v6, s[2:3] offset:5008
	;; [unrolled: 1-line block ×4, first 2 shown]
	s_mov_b32 s2, 0x4755a5e
	s_mov_b32 s3, 0x3fe2cf23
	s_wait_alu 0xfffe
	s_mov_b32 s10, s2
	s_wait_loadcnt 0x3
	v_mul_f64_e32 v[4:5], v[14:15], v[138:139]
	s_delay_alu instid0(VALU_DEP_1) | instskip(SKIP_2) | instid1(VALU_DEP_2)
	v_fma_f64 v[248:249], v[12:13], v[136:137], -v[4:5]
	v_mul_f64_e32 v[4:5], v[12:13], v[138:139]
	v_add_f64_e32 v[12:13], v[36:37], v[44:45]
	v_fma_f64 v[250:251], v[14:15], v[136:137], v[4:5]
	s_wait_loadcnt 0x2
	v_mul_f64_e32 v[4:5], v[22:23], v[130:131]
	s_delay_alu instid0(VALU_DEP_1) | instskip(SKIP_1) | instid1(VALU_DEP_1)
	v_fma_f64 v[252:253], v[20:21], v[128:129], -v[4:5]
	v_mul_f64_e32 v[4:5], v[20:21], v[130:131]
	v_fma_f64 v[254:255], v[22:23], v[128:129], v[4:5]
	s_wait_loadcnt_dscnt 0x100
	v_mul_f64_e32 v[4:5], v[18:19], v[166:167]
	s_delay_alu instid0(VALU_DEP_1) | instskip(SKIP_1) | instid1(VALU_DEP_1)
	v_fma_f64 v[72:73], v[16:17], v[164:165], -v[4:5]
	v_mul_f64_e32 v[4:5], v[16:17], v[166:167]
	v_fma_f64 v[74:75], v[18:19], v[164:165], v[4:5]
	ds_load_b128 v[4:7], v108 offset:24192
	s_wait_loadcnt_dscnt 0x0
	v_mul_f64_e32 v[8:9], v[6:7], v[134:135]
	s_delay_alu instid0(VALU_DEP_1) | instskip(SKIP_1) | instid1(VALU_DEP_1)
	v_fma_f64 v[76:77], v[4:5], v[132:133], -v[8:9]
	v_mul_f64_e32 v[4:5], v[4:5], v[134:135]
	v_fma_f64 v[78:79], v[6:7], v[132:133], v[4:5]
	v_add_f64_e64 v[4:5], v[24:25], -v[36:37]
	v_add_f64_e64 v[6:7], v[54:55], -v[44:45]
	s_delay_alu instid0(VALU_DEP_1) | instskip(SKIP_2) | instid1(VALU_DEP_1)
	v_add_f64_e32 v[16:17], v[4:5], v[6:7]
	v_add_f64_e64 v[4:5], v[26:27], -v[38:39]
	v_add_f64_e64 v[6:7], v[52:53], -v[46:47]
	v_add_f64_e32 v[18:19], v[4:5], v[6:7]
	ds_load_b128 v[4:7], v108
	ds_load_b128 v[8:11], v108 offset:1008
	s_wait_dscnt 0x1
	v_fma_f64 v[20:21], v[12:13], -0.5, v[4:5]
	v_add_f64_e32 v[12:13], v[38:39], v[46:47]
	s_delay_alu instid0(VALU_DEP_1) | instskip(NEXT) | instid1(VALU_DEP_3)
	v_fma_f64 v[22:23], v[12:13], -0.5, v[6:7]
	v_fma_f64 v[12:13], v[176:177], s[12:13], v[20:21]
	v_fma_f64 v[20:21], v[176:177], s[14:15], v[20:21]
	s_delay_alu instid0(VALU_DEP_3) | instskip(SKIP_1) | instid1(VALU_DEP_4)
	v_fma_f64 v[14:15], v[180:181], s[14:15], v[22:23]
	v_fma_f64 v[22:23], v[180:181], s[12:13], v[22:23]
	;; [unrolled: 1-line block ×3, first 2 shown]
	s_wait_alu 0xfffe
	s_delay_alu instid0(VALU_DEP_4) | instskip(NEXT) | instid1(VALU_DEP_4)
	v_fma_f64 v[20:21], v[178:179], s[10:11], v[20:21]
	v_fma_f64 v[14:15], v[182:183], s[10:11], v[14:15]
	s_delay_alu instid0(VALU_DEP_4) | instskip(NEXT) | instid1(VALU_DEP_4)
	v_fma_f64 v[22:23], v[182:183], s[2:3], v[22:23]
	v_fma_f64 v[12:13], v[16:17], s[18:19], v[12:13]
	s_delay_alu instid0(VALU_DEP_4) | instskip(SKIP_4) | instid1(VALU_DEP_4)
	v_fma_f64 v[16:17], v[16:17], s[18:19], v[20:21]
	v_add_f64_e32 v[20:21], v[24:25], v[54:55]
	v_fma_f64 v[14:15], v[18:19], s[18:19], v[14:15]
	v_fma_f64 v[18:19], v[18:19], s[18:19], v[22:23]
	v_add_f64_e32 v[22:23], v[26:27], v[52:53]
	v_fma_f64 v[20:21], v[20:21], -0.5, v[4:5]
	v_add_f64_e32 v[4:5], v[4:5], v[24:25]
	v_add_f64_e64 v[24:25], v[36:37], -v[24:25]
	s_delay_alu instid0(VALU_DEP_4) | instskip(SKIP_4) | instid1(VALU_DEP_4)
	v_fma_f64 v[22:23], v[22:23], -0.5, v[6:7]
	v_add_f64_e32 v[6:7], v[6:7], v[26:27]
	v_add_f64_e64 v[26:27], v[38:39], -v[26:27]
	v_add_f64_e32 v[4:5], v[4:5], v[36:37]
	v_add_f64_e64 v[36:37], v[44:45], -v[54:55]
	;; [unrolled: 2-line block ×3, first 2 shown]
	s_delay_alu instid0(VALU_DEP_4)
	v_add_f64_e32 v[4:5], v[4:5], v[44:45]
	v_fma_f64 v[44:45], v[178:179], s[14:15], v[20:21]
	v_fma_f64 v[20:21], v[178:179], s[12:13], v[20:21]
	v_add_f64_e32 v[24:25], v[24:25], v[36:37]
	v_add_f64_e32 v[6:7], v[6:7], v[46:47]
	v_fma_f64 v[46:47], v[182:183], s[12:13], v[22:23]
	v_fma_f64 v[22:23], v[182:183], s[14:15], v[22:23]
	v_add_f64_e32 v[26:27], v[26:27], v[38:39]
	v_fma_f64 v[36:37], v[176:177], s[2:3], v[44:45]
	v_fma_f64 v[38:39], v[176:177], s[10:11], v[20:21]
	v_add_f64_e32 v[4:5], v[4:5], v[54:55]
	v_add_f64_e64 v[54:55], v[28:29], -v[64:65]
	v_add_f64_e64 v[176:177], v[40:41], -v[56:57]
	v_add_f64_e32 v[6:7], v[6:7], v[52:53]
	v_fma_f64 v[44:45], v[180:181], s[10:11], v[46:47]
	v_fma_f64 v[46:47], v[180:181], s[2:3], v[22:23]
	;; [unrolled: 1-line block ×4, first 2 shown]
	v_add_f64_e64 v[24:25], v[28:29], -v[40:41]
	v_add_f64_e64 v[36:37], v[66:67], -v[58:59]
	v_add_f64_e32 v[38:39], v[42:43], v[58:59]
	v_fma_f64 v[22:23], v[26:27], s[18:19], v[44:45]
	v_fma_f64 v[182:183], v[26:27], s[18:19], v[46:47]
	v_add_f64_e64 v[26:27], v[64:65], -v[56:57]
	v_add_f64_e64 v[44:45], v[30:31], -v[66:67]
	;; [unrolled: 1-line block ×3, first 2 shown]
	s_wait_dscnt 0x0
	v_fma_f64 v[38:39], v[38:39], -0.5, v[10:11]
	s_delay_alu instid0(VALU_DEP_4) | instskip(SKIP_1) | instid1(VALU_DEP_3)
	v_add_f64_e32 v[24:25], v[24:25], v[26:27]
	v_add_f64_e64 v[26:27], v[30:31], -v[42:43]
	v_fma_f64 v[178:179], v[54:55], s[14:15], v[38:39]
	v_fma_f64 v[38:39], v[54:55], s[12:13], v[38:39]
	s_delay_alu instid0(VALU_DEP_3) | instskip(SKIP_1) | instid1(VALU_DEP_4)
	v_add_f64_e32 v[26:27], v[26:27], v[36:37]
	v_add_f64_e32 v[36:37], v[40:41], v[56:57]
	v_fma_f64 v[178:179], v[176:177], s[10:11], v[178:179]
	s_delay_alu instid0(VALU_DEP_4) | instskip(NEXT) | instid1(VALU_DEP_3)
	v_fma_f64 v[38:39], v[176:177], s[2:3], v[38:39]
	v_fma_f64 v[36:37], v[36:37], -0.5, v[8:9]
	s_delay_alu instid0(VALU_DEP_3) | instskip(NEXT) | instid1(VALU_DEP_3)
	v_fma_f64 v[186:187], v[26:27], s[18:19], v[178:179]
	v_fma_f64 v[190:191], v[26:27], s[18:19], v[38:39]
	v_add_f64_e32 v[26:27], v[30:31], v[66:67]
	v_add_f64_e64 v[38:39], v[58:59], -v[66:67]
	v_fma_f64 v[52:53], v[44:45], s[12:13], v[36:37]
	v_fma_f64 v[36:37], v[44:45], s[14:15], v[36:37]
	s_delay_alu instid0(VALU_DEP_4) | instskip(SKIP_4) | instid1(VALU_DEP_4)
	v_fma_f64 v[26:27], v[26:27], -0.5, v[10:11]
	v_add_f64_e32 v[10:11], v[10:11], v[30:31]
	v_add_f64_e64 v[30:31], v[42:43], -v[30:31]
	v_fma_f64 v[52:53], v[46:47], s[2:3], v[52:53]
	v_fma_f64 v[36:37], v[46:47], s[10:11], v[36:37]
	v_add_f64_e32 v[10:11], v[10:11], v[42:43]
	v_fma_f64 v[42:43], v[176:177], s[12:13], v[26:27]
	v_fma_f64 v[26:27], v[176:177], s[14:15], v[26:27]
	v_add_f64_e32 v[30:31], v[30:31], v[38:39]
	ds_load_b128 v[176:179], v108 offset:2016
	ds_load_b128 v[200:203], v108 offset:3024
	v_fma_f64 v[184:185], v[24:25], s[18:19], v[52:53]
	v_fma_f64 v[188:189], v[24:25], s[18:19], v[36:37]
	v_add_f64_e32 v[24:25], v[28:29], v[64:65]
	v_add_f64_e64 v[36:37], v[56:57], -v[64:65]
	v_add_f64_e32 v[10:11], v[10:11], v[58:59]
	v_fma_f64 v[38:39], v[54:55], s[10:11], v[42:43]
	v_fma_f64 v[26:27], v[54:55], s[2:3], v[26:27]
	v_add_f64_e64 v[42:43], v[32:33], -v[109:110]
	v_fma_f64 v[24:25], v[24:25], -0.5, v[8:9]
	v_add_f64_e32 v[8:9], v[8:9], v[28:29]
	v_add_f64_e64 v[28:29], v[40:41], -v[28:29]
	v_add_f64_e32 v[10:11], v[10:11], v[66:67]
	v_fma_f64 v[194:195], v[30:31], s[18:19], v[38:39]
	v_fma_f64 v[198:199], v[30:31], s[18:19], v[26:27]
	v_add_f64_e64 v[26:27], v[109:110], -v[68:69]
	v_add_f64_e32 v[30:31], v[50:51], v[70:71]
	v_add_f64_e64 v[38:39], v[50:51], -v[70:71]
	v_add_f64_e32 v[8:9], v[8:9], v[40:41]
	v_fma_f64 v[40:41], v[46:47], s[14:15], v[24:25]
	v_fma_f64 v[24:25], v[46:47], s[12:13], v[24:25]
	v_add_f64_e32 v[28:29], v[28:29], v[36:37]
	s_wait_dscnt 0x1
	v_fma_f64 v[30:31], v[30:31], -0.5, v[178:179]
	v_add_f64_e32 v[8:9], v[8:9], v[56:57]
	v_fma_f64 v[36:37], v[44:45], s[2:3], v[40:41]
	v_fma_f64 v[24:25], v[44:45], s[10:11], v[24:25]
	v_add_f64_e64 v[44:45], v[48:49], -v[68:69]
	v_fma_f64 v[46:47], v[42:43], s[14:15], v[30:31]
	v_fma_f64 v[30:31], v[42:43], s[12:13], v[30:31]
	v_add_f64_e32 v[8:9], v[8:9], v[64:65]
	v_fma_f64 v[192:193], v[28:29], s[18:19], v[36:37]
	v_fma_f64 v[196:197], v[28:29], s[18:19], v[24:25]
	v_add_f64_e64 v[24:25], v[32:33], -v[48:49]
	v_add_f64_e64 v[28:29], v[216:217], -v[70:71]
	;; [unrolled: 1-line block ×3, first 2 shown]
	v_fma_f64 v[46:47], v[44:45], s[10:11], v[46:47]
	v_fma_f64 v[30:31], v[44:45], s[2:3], v[30:31]
	v_add_f64_e32 v[24:25], v[24:25], v[26:27]
	v_add_f64_e64 v[26:27], v[34:35], -v[50:51]
	s_delay_alu instid0(VALU_DEP_1) | instskip(SKIP_1) | instid1(VALU_DEP_2)
	v_add_f64_e32 v[26:27], v[26:27], v[28:29]
	v_add_f64_e32 v[28:29], v[48:49], v[68:69]
	v_fma_f64 v[210:211], v[26:27], s[18:19], v[30:31]
	s_delay_alu instid0(VALU_DEP_2)
	v_fma_f64 v[28:29], v[28:29], -0.5, v[176:177]
	v_add_f64_e32 v[30:31], v[178:179], v[34:35]
	v_fma_f64 v[206:207], v[26:27], s[18:19], v[46:47]
	v_add_f64_e32 v[26:27], v[34:35], v[216:217]
	v_add_f64_e64 v[34:35], v[50:51], -v[34:35]
	v_fma_f64 v[40:41], v[36:37], s[12:13], v[28:29]
	v_fma_f64 v[28:29], v[36:37], s[14:15], v[28:29]
	v_add_f64_e32 v[30:31], v[30:31], v[50:51]
	v_fma_f64 v[26:27], v[26:27], -0.5, v[178:179]
	s_delay_alu instid0(VALU_DEP_4) | instskip(NEXT) | instid1(VALU_DEP_4)
	v_fma_f64 v[40:41], v[38:39], s[2:3], v[40:41]
	v_fma_f64 v[28:29], v[38:39], s[10:11], v[28:29]
	s_delay_alu instid0(VALU_DEP_4) | instskip(NEXT) | instid1(VALU_DEP_3)
	v_add_f64_e32 v[30:31], v[30:31], v[70:71]
	v_fma_f64 v[204:205], v[24:25], s[18:19], v[40:41]
	s_delay_alu instid0(VALU_DEP_3)
	v_fma_f64 v[208:209], v[24:25], s[18:19], v[28:29]
	v_add_f64_e32 v[28:29], v[176:177], v[32:33]
	v_add_f64_e32 v[24:25], v[32:33], v[109:110]
	v_add_f64_e64 v[32:33], v[48:49], -v[32:33]
	v_add_f64_e64 v[40:41], v[68:69], -v[109:110]
	v_add_f64_e32 v[214:215], v[30:31], v[216:217]
	v_add_f64_e32 v[28:29], v[28:29], v[48:49]
	v_fma_f64 v[24:25], v[24:25], -0.5, v[176:177]
	s_delay_alu instid0(VALU_DEP_4) | instskip(SKIP_1) | instid1(VALU_DEP_4)
	v_add_f64_e32 v[32:33], v[32:33], v[40:41]
	v_add_f64_e64 v[40:41], v[236:237], -v[240:241]
	v_add_f64_e32 v[28:29], v[28:29], v[68:69]
	s_delay_alu instid0(VALU_DEP_4)
	v_fma_f64 v[30:31], v[38:39], s[14:15], v[24:25]
	v_fma_f64 v[24:25], v[38:39], s[12:13], v[24:25]
	;; [unrolled: 1-line block ×4, first 2 shown]
	v_add_f64_e64 v[44:45], v[240:241], -v[244:245]
	v_add_f64_e32 v[212:213], v[28:29], v[109:110]
	v_add_f64_e64 v[28:29], v[70:71], -v[216:217]
	v_fma_f64 v[24:25], v[36:37], s[10:11], v[24:25]
	v_fma_f64 v[30:31], v[36:37], s[2:3], v[30:31]
	;; [unrolled: 1-line block ×3, first 2 shown]
	s_delay_alu instid0(VALU_DEP_4)
	v_add_f64_e32 v[28:29], v[34:35], v[28:29]
	v_fma_f64 v[34:35], v[42:43], s[10:11], v[38:39]
	v_fma_f64 v[220:221], v[32:33], s[18:19], v[24:25]
	v_add_f64_e64 v[24:25], v[232:233], -v[236:237]
	v_fma_f64 v[216:217], v[32:33], s[18:19], v[30:31]
	v_add_f64_e32 v[30:31], v[238:239], v[242:243]
	v_add_f64_e64 v[32:33], v[234:235], -v[246:247]
	v_add_f64_e64 v[38:39], v[232:233], -v[244:245]
	v_fma_f64 v[222:223], v[28:29], s[18:19], v[26:27]
	v_add_f64_e64 v[26:27], v[244:245], -v[240:241]
	v_fma_f64 v[218:219], v[28:29], s[18:19], v[34:35]
	v_add_f64_e64 v[28:29], v[246:247], -v[242:243]
	v_add_f64_e64 v[34:35], v[238:239], -v[242:243]
	s_wait_dscnt 0x0
	v_fma_f64 v[30:31], v[30:31], -0.5, v[202:203]
	v_add_f64_e32 v[24:25], v[24:25], v[26:27]
	v_add_f64_e64 v[26:27], v[234:235], -v[238:239]
	s_delay_alu instid0(VALU_DEP_3) | instskip(SKIP_1) | instid1(VALU_DEP_3)
	v_fma_f64 v[42:43], v[38:39], s[14:15], v[30:31]
	v_fma_f64 v[30:31], v[38:39], s[12:13], v[30:31]
	v_add_f64_e32 v[26:27], v[26:27], v[28:29]
	v_add_f64_e32 v[28:29], v[236:237], v[240:241]
	s_delay_alu instid0(VALU_DEP_4) | instskip(NEXT) | instid1(VALU_DEP_4)
	v_fma_f64 v[42:43], v[40:41], s[10:11], v[42:43]
	v_fma_f64 v[30:31], v[40:41], s[2:3], v[30:31]
	s_delay_alu instid0(VALU_DEP_3) | instskip(NEXT) | instid1(VALU_DEP_3)
	v_fma_f64 v[28:29], v[28:29], -0.5, v[200:201]
	v_fma_f64 v[226:227], v[26:27], s[18:19], v[42:43]
	s_delay_alu instid0(VALU_DEP_3)
	v_fma_f64 v[230:231], v[26:27], s[18:19], v[30:31]
	v_add_f64_e32 v[30:31], v[202:203], v[234:235]
	v_add_f64_e32 v[26:27], v[234:235], v[246:247]
	v_add_f64_e64 v[42:43], v[238:239], -v[234:235]
	v_fma_f64 v[36:37], v[32:33], s[12:13], v[28:29]
	v_fma_f64 v[28:29], v[32:33], s[14:15], v[28:29]
	v_add_f64_e32 v[30:31], v[30:31], v[238:239]
	v_fma_f64 v[26:27], v[26:27], -0.5, v[202:203]
	s_delay_alu instid0(VALU_DEP_4) | instskip(NEXT) | instid1(VALU_DEP_4)
	v_fma_f64 v[36:37], v[34:35], s[2:3], v[36:37]
	v_fma_f64 v[28:29], v[34:35], s[10:11], v[28:29]
	s_delay_alu instid0(VALU_DEP_4) | instskip(NEXT) | instid1(VALU_DEP_3)
	v_add_f64_e32 v[30:31], v[30:31], v[242:243]
	v_fma_f64 v[224:225], v[24:25], s[18:19], v[36:37]
	s_delay_alu instid0(VALU_DEP_3) | instskip(SKIP_4) | instid1(VALU_DEP_4)
	v_fma_f64 v[228:229], v[24:25], s[18:19], v[28:29]
	v_add_f64_e32 v[28:29], v[200:201], v[232:233]
	v_add_f64_e32 v[24:25], v[232:233], v[244:245]
	v_add_f64_e64 v[36:37], v[236:237], -v[232:233]
	v_add_f64_e32 v[202:203], v[30:31], v[246:247]
	v_add_f64_e32 v[28:29], v[28:29], v[236:237]
	s_delay_alu instid0(VALU_DEP_4) | instskip(NEXT) | instid1(VALU_DEP_4)
	v_fma_f64 v[24:25], v[24:25], -0.5, v[200:201]
	v_add_f64_e32 v[36:37], v[36:37], v[44:45]
	s_delay_alu instid0(VALU_DEP_3) | instskip(NEXT) | instid1(VALU_DEP_3)
	v_add_f64_e32 v[28:29], v[28:29], v[240:241]
	v_fma_f64 v[30:31], v[34:35], s[14:15], v[24:25]
	v_fma_f64 v[24:25], v[34:35], s[12:13], v[24:25]
	;; [unrolled: 1-line block ×4, first 2 shown]
	v_add_f64_e64 v[40:41], v[248:249], -v[76:77]
	v_add_f64_e32 v[200:201], v[28:29], v[244:245]
	v_add_f64_e64 v[28:29], v[242:243], -v[246:247]
	v_fma_f64 v[24:25], v[32:33], s[10:11], v[24:25]
	v_fma_f64 v[30:31], v[32:33], s[2:3], v[30:31]
	;; [unrolled: 1-line block ×4, first 2 shown]
	v_add_f64_e64 v[38:39], v[252:253], -v[72:73]
	v_add_f64_e64 v[34:35], v[250:251], -v[78:79]
	v_add_f64_e32 v[28:29], v[42:43], v[28:29]
	v_fma_f64 v[236:237], v[36:37], s[18:19], v[24:25]
	v_add_f64_e64 v[24:25], v[252:253], -v[248:249]
	v_fma_f64 v[232:233], v[36:37], s[18:19], v[30:31]
	v_add_f64_e32 v[30:31], v[250:251], v[78:79]
	v_fma_f64 v[238:239], v[28:29], s[18:19], v[26:27]
	v_add_f64_e64 v[26:27], v[72:73], -v[76:77]
	v_fma_f64 v[234:235], v[28:29], s[18:19], v[32:33]
	v_add_f64_e64 v[28:29], v[74:75], -v[78:79]
	v_fma_f64 v[30:31], v[30:31], -0.5, v[2:3]
	v_add_f64_e64 v[32:33], v[254:255], -v[74:75]
	v_add_f64_e32 v[24:25], v[24:25], v[26:27]
	v_add_f64_e64 v[26:27], v[254:255], -v[250:251]
	s_delay_alu instid0(VALU_DEP_4) | instskip(SKIP_1) | instid1(VALU_DEP_3)
	v_fma_f64 v[42:43], v[38:39], s[12:13], v[30:31]
	v_fma_f64 v[30:31], v[38:39], s[14:15], v[30:31]
	v_add_f64_e32 v[26:27], v[26:27], v[28:29]
	v_add_f64_e32 v[28:29], v[248:249], v[76:77]
	s_delay_alu instid0(VALU_DEP_4) | instskip(NEXT) | instid1(VALU_DEP_4)
	v_fma_f64 v[42:43], v[40:41], s[10:11], v[42:43]
	v_fma_f64 v[30:31], v[40:41], s[2:3], v[30:31]
	s_delay_alu instid0(VALU_DEP_3) | instskip(NEXT) | instid1(VALU_DEP_3)
	v_fma_f64 v[28:29], v[28:29], -0.5, v[0:1]
	v_fma_f64 v[242:243], v[26:27], s[18:19], v[42:43]
	s_delay_alu instid0(VALU_DEP_3)
	v_fma_f64 v[246:247], v[26:27], s[18:19], v[30:31]
	v_add_f64_e32 v[26:27], v[254:255], v[74:75]
	v_add_f64_e64 v[30:31], v[250:251], -v[254:255]
	v_add_f64_e64 v[42:43], v[78:79], -v[74:75]
	v_fma_f64 v[36:37], v[32:33], s[14:15], v[28:29]
	v_fma_f64 v[28:29], v[32:33], s[12:13], v[28:29]
	v_fma_f64 v[26:27], v[26:27], -0.5, v[2:3]
	v_add_f64_e32 v[2:3], v[2:3], v[250:251]
	v_add_f64_e32 v[30:31], v[30:31], v[42:43]
	v_fma_f64 v[36:37], v[34:35], s[2:3], v[36:37]
	v_fma_f64 v[28:29], v[34:35], s[10:11], v[28:29]
	s_delay_alu instid0(VALU_DEP_4) | instskip(NEXT) | instid1(VALU_DEP_3)
	v_add_f64_e32 v[2:3], v[2:3], v[254:255]
	v_fma_f64 v[240:241], v[24:25], s[18:19], v[36:37]
	s_delay_alu instid0(VALU_DEP_3) | instskip(SKIP_4) | instid1(VALU_DEP_4)
	v_fma_f64 v[244:245], v[24:25], s[18:19], v[28:29]
	v_add_f64_e32 v[24:25], v[252:253], v[72:73]
	v_add_f64_e64 v[28:29], v[248:249], -v[252:253]
	v_add_f64_e64 v[36:37], v[76:77], -v[72:73]
	v_add_f64_e32 v[2:3], v[2:3], v[74:75]
	v_fma_f64 v[24:25], v[24:25], -0.5, v[0:1]
	v_add_f64_e32 v[0:1], v[0:1], v[248:249]
	s_delay_alu instid0(VALU_DEP_4) | instskip(NEXT) | instid1(VALU_DEP_4)
	v_add_f64_e32 v[28:29], v[28:29], v[36:37]
	v_add_f64_e32 v[2:3], v[2:3], v[78:79]
	s_delay_alu instid0(VALU_DEP_4) | instskip(NEXT) | instid1(VALU_DEP_4)
	v_fma_f64 v[44:45], v[34:35], s[12:13], v[24:25]
	v_add_f64_e32 v[0:1], v[0:1], v[252:253]
	v_fma_f64 v[24:25], v[34:35], s[14:15], v[24:25]
	v_fma_f64 v[34:35], v[40:41], s[14:15], v[26:27]
	;; [unrolled: 1-line block ×4, first 2 shown]
	v_add_f64_e32 v[0:1], v[0:1], v[72:73]
	v_fma_f64 v[24:25], v[32:33], s[10:11], v[24:25]
	v_fma_f64 v[32:33], v[38:39], s[10:11], v[34:35]
	;; [unrolled: 1-line block ×3, first 2 shown]
	s_add_nc_u64 s[2:3], s[16:17], 0x6270
	v_fma_f64 v[248:249], v[28:29], s[18:19], v[36:37]
	v_add_f64_e32 v[0:1], v[0:1], v[76:77]
	v_fma_f64 v[176:177], v[28:29], s[18:19], v[24:25]
	v_fma_f64 v[250:251], v[30:31], s[18:19], v[32:33]
	;; [unrolled: 1-line block ×3, first 2 shown]
	ds_store_b128 v108, v[4:7]
	ds_store_b128 v108, v[8:11] offset:1008
	ds_store_b128 v108, v[212:215] offset:2016
	;; [unrolled: 1-line block ×24, first 2 shown]
	global_wb scope:SCOPE_SE
	s_wait_storecnt_dscnt 0x0
	s_barrier_signal -1
	s_barrier_wait -1
	global_inv scope:SCOPE_SE
	scratch_load_b64 v[0:1], off, off offset:4 ; 8-byte Folded Reload
	global_load_b128 v[180:183], v108, s[2:3] offset:8400
	s_wait_loadcnt 0x1
	global_load_b128 v[184:187], v[0:1], off offset:25200
	ds_load_b128 v[0:3], v108
	ds_load_b128 v[4:7], v108 offset:1008
	ds_load_b128 v[8:11], v108 offset:8400
	global_load_b128 v[16:19], v108, s[2:3] offset:7056
	s_wait_loadcnt_dscnt 0x102
	v_mul_f64_e32 v[12:13], v[2:3], v[186:187]
	v_mul_f64_e32 v[14:15], v[0:1], v[186:187]
	s_delay_alu instid0(VALU_DEP_2) | instskip(NEXT) | instid1(VALU_DEP_2)
	v_fma_f64 v[0:1], v[0:1], v[184:185], -v[12:13]
	v_fma_f64 v[2:3], v[2:3], v[184:185], v[14:15]
	ds_load_b128 v[12:15], v108 offset:9408
	s_wait_dscnt 0x1
	v_mul_f64_e32 v[20:21], v[10:11], v[182:183]
	v_mul_f64_e32 v[22:23], v[8:9], v[182:183]
	s_delay_alu instid0(VALU_DEP_2) | instskip(NEXT) | instid1(VALU_DEP_2)
	v_fma_f64 v[8:9], v[8:9], v[180:181], -v[20:21]
	v_fma_f64 v[10:11], v[10:11], v[180:181], v[22:23]
	global_load_b128 v[20:23], v108, s[2:3] offset:16800
	ds_load_b128 v[180:183], v108 offset:16800
	ds_load_b128 v[184:187], v108 offset:17808
	global_load_b128 v[188:191], v108, s[2:3] offset:15456
	s_wait_loadcnt_dscnt 0x101
	v_mul_f64_e32 v[24:25], v[182:183], v[22:23]
	v_mul_f64_e32 v[26:27], v[180:181], v[22:23]
	s_delay_alu instid0(VALU_DEP_2) | instskip(NEXT) | instid1(VALU_DEP_2)
	v_fma_f64 v[22:23], v[180:181], v[20:21], -v[24:25]
	v_fma_f64 v[24:25], v[182:183], v[20:21], v[26:27]
	s_clause 0x1
	global_load_b128 v[180:183], v108, s[2:3] offset:1008
	global_load_b128 v[192:195], v108, s[2:3] offset:2016
	s_wait_loadcnt 0x1
	v_mul_f64_e32 v[20:21], v[6:7], v[182:183]
	v_mul_f64_e32 v[26:27], v[4:5], v[182:183]
	s_delay_alu instid0(VALU_DEP_2) | instskip(NEXT) | instid1(VALU_DEP_2)
	v_fma_f64 v[4:5], v[4:5], v[180:181], -v[20:21]
	v_fma_f64 v[6:7], v[6:7], v[180:181], v[26:27]
	s_clause 0x1
	global_load_b128 v[180:183], v108, s[2:3] offset:9408
	global_load_b128 v[196:199], v108, s[2:3] offset:10416
	s_wait_loadcnt 0x1
	v_mul_f64_e32 v[20:21], v[14:15], v[182:183]
	v_mul_f64_e32 v[26:27], v[12:13], v[182:183]
	s_delay_alu instid0(VALU_DEP_2) | instskip(NEXT) | instid1(VALU_DEP_2)
	v_fma_f64 v[12:13], v[12:13], v[180:181], -v[20:21]
	v_fma_f64 v[14:15], v[14:15], v[180:181], v[26:27]
	s_clause 0x1
	global_load_b128 v[180:183], v108, s[2:3] offset:17808
	global_load_b128 v[200:203], v108, s[2:3] offset:18816
	ds_load_b128 v[204:207], v108 offset:2016
	ds_load_b128 v[208:211], v108 offset:3024
	s_wait_loadcnt_dscnt 0x102
	v_mul_f64_e32 v[20:21], v[186:187], v[182:183]
	v_mul_f64_e32 v[26:27], v[184:185], v[182:183]
	s_delay_alu instid0(VALU_DEP_2) | instskip(NEXT) | instid1(VALU_DEP_2)
	v_fma_f64 v[182:183], v[184:185], v[180:181], -v[20:21]
	v_fma_f64 v[184:185], v[186:187], v[180:181], v[26:27]
	s_wait_dscnt 0x1
	v_mul_f64_e32 v[20:21], v[206:207], v[194:195]
	v_mul_f64_e32 v[26:27], v[204:205], v[194:195]
	s_delay_alu instid0(VALU_DEP_2) | instskip(NEXT) | instid1(VALU_DEP_2)
	v_fma_f64 v[204:205], v[204:205], v[192:193], -v[20:21]
	v_fma_f64 v[206:207], v[206:207], v[192:193], v[26:27]
	ds_load_b128 v[192:195], v108 offset:10416
	ds_load_b128 v[212:215], v108 offset:11424
	s_wait_dscnt 0x1
	v_mul_f64_e32 v[20:21], v[194:195], v[198:199]
	v_mul_f64_e32 v[26:27], v[192:193], v[198:199]
	s_delay_alu instid0(VALU_DEP_2) | instskip(NEXT) | instid1(VALU_DEP_2)
	v_fma_f64 v[192:193], v[192:193], v[196:197], -v[20:21]
	v_fma_f64 v[194:195], v[194:195], v[196:197], v[26:27]
	ds_load_b128 v[196:199], v108 offset:18816
	ds_load_b128 v[216:219], v108 offset:19824
	s_wait_loadcnt_dscnt 0x1
	v_mul_f64_e32 v[20:21], v[198:199], v[202:203]
	v_mul_f64_e32 v[26:27], v[196:197], v[202:203]
	s_delay_alu instid0(VALU_DEP_2) | instskip(NEXT) | instid1(VALU_DEP_2)
	v_fma_f64 v[196:197], v[196:197], v[200:201], -v[20:21]
	v_fma_f64 v[198:199], v[198:199], v[200:201], v[26:27]
	s_clause 0x1
	global_load_b128 v[200:203], v108, s[2:3] offset:3024
	global_load_b128 v[220:223], v108, s[2:3] offset:4032
	s_wait_loadcnt 0x1
	v_mul_f64_e32 v[20:21], v[210:211], v[202:203]
	v_mul_f64_e32 v[26:27], v[208:209], v[202:203]
	s_delay_alu instid0(VALU_DEP_2) | instskip(NEXT) | instid1(VALU_DEP_2)
	v_fma_f64 v[208:209], v[208:209], v[200:201], -v[20:21]
	v_fma_f64 v[210:211], v[210:211], v[200:201], v[26:27]
	s_clause 0x1
	global_load_b128 v[200:203], v108, s[2:3] offset:11424
	global_load_b128 v[224:227], v108, s[2:3] offset:12432
	s_wait_loadcnt 0x1
	v_mul_f64_e32 v[20:21], v[214:215], v[202:203]
	v_mul_f64_e32 v[26:27], v[212:213], v[202:203]
	s_delay_alu instid0(VALU_DEP_2) | instskip(NEXT) | instid1(VALU_DEP_2)
	v_fma_f64 v[212:213], v[212:213], v[200:201], -v[20:21]
	v_fma_f64 v[214:215], v[214:215], v[200:201], v[26:27]
	s_clause 0x1
	global_load_b128 v[200:203], v108, s[2:3] offset:19824
	global_load_b128 v[228:231], v108, s[2:3] offset:20832
	s_wait_loadcnt_dscnt 0x100
	v_mul_f64_e32 v[20:21], v[218:219], v[202:203]
	v_mul_f64_e32 v[26:27], v[216:217], v[202:203]
	s_delay_alu instid0(VALU_DEP_2) | instskip(NEXT) | instid1(VALU_DEP_2)
	v_fma_f64 v[216:217], v[216:217], v[200:201], -v[20:21]
	v_fma_f64 v[218:219], v[218:219], v[200:201], v[26:27]
	ds_load_b128 v[200:203], v108 offset:4032
	ds_load_b128 v[232:235], v108 offset:5040
	s_wait_dscnt 0x1
	v_mul_f64_e32 v[20:21], v[202:203], v[222:223]
	v_mul_f64_e32 v[26:27], v[200:201], v[222:223]
	s_delay_alu instid0(VALU_DEP_2) | instskip(NEXT) | instid1(VALU_DEP_2)
	v_fma_f64 v[200:201], v[200:201], v[220:221], -v[20:21]
	v_fma_f64 v[202:203], v[202:203], v[220:221], v[26:27]
	ds_load_b128 v[220:223], v108 offset:12432
	ds_load_b128 v[236:239], v108 offset:13440
	s_wait_dscnt 0x1
	v_mul_f64_e32 v[20:21], v[222:223], v[226:227]
	v_mul_f64_e32 v[26:27], v[220:221], v[226:227]
	s_delay_alu instid0(VALU_DEP_2) | instskip(NEXT) | instid1(VALU_DEP_2)
	v_fma_f64 v[220:221], v[220:221], v[224:225], -v[20:21]
	v_fma_f64 v[222:223], v[222:223], v[224:225], v[26:27]
	ds_load_b128 v[224:227], v108 offset:20832
	ds_load_b128 v[240:243], v108 offset:21840
	s_wait_loadcnt_dscnt 0x1
	v_mul_f64_e32 v[20:21], v[226:227], v[230:231]
	v_mul_f64_e32 v[26:27], v[224:225], v[230:231]
	s_delay_alu instid0(VALU_DEP_2) | instskip(NEXT) | instid1(VALU_DEP_2)
	v_fma_f64 v[224:225], v[224:225], v[228:229], -v[20:21]
	v_fma_f64 v[226:227], v[226:227], v[228:229], v[26:27]
	s_clause 0x3
	global_load_b128 v[228:231], v108, s[2:3] offset:5040
	global_load_b128 v[244:247], v108, s[2:3] offset:6048
	global_load_b128 v[248:251], v108, s[2:3] offset:13440
	global_load_b128 v[252:255], v108, s[2:3] offset:14448
	s_wait_loadcnt 0x3
	v_mul_f64_e32 v[20:21], v[234:235], v[230:231]
	v_mul_f64_e32 v[26:27], v[232:233], v[230:231]
	s_delay_alu instid0(VALU_DEP_2) | instskip(NEXT) | instid1(VALU_DEP_2)
	v_fma_f64 v[230:231], v[232:233], v[228:229], -v[20:21]
	v_fma_f64 v[232:233], v[234:235], v[228:229], v[26:27]
	s_wait_loadcnt 0x1
	v_mul_f64_e32 v[20:21], v[238:239], v[250:251]
	v_mul_f64_e32 v[26:27], v[236:237], v[250:251]
	s_delay_alu instid0(VALU_DEP_2) | instskip(NEXT) | instid1(VALU_DEP_2)
	v_fma_f64 v[234:235], v[236:237], v[248:249], -v[20:21]
	v_fma_f64 v[236:237], v[238:239], v[248:249], v[26:27]
	s_clause 0x1
	global_load_b128 v[248:251], v108, s[2:3] offset:21840
	global_load_b128 v[26:29], v108, s[2:3] offset:22848
	s_wait_loadcnt_dscnt 0x100
	v_mul_f64_e32 v[20:21], v[242:243], v[250:251]
	v_mul_f64_e32 v[30:31], v[240:241], v[250:251]
	s_delay_alu instid0(VALU_DEP_2) | instskip(NEXT) | instid1(VALU_DEP_2)
	v_fma_f64 v[238:239], v[240:241], v[248:249], -v[20:21]
	v_fma_f64 v[240:241], v[242:243], v[248:249], v[30:31]
	ds_load_b128 v[248:251], v108 offset:6048
	ds_load_b128 v[30:33], v108 offset:7056
	s_wait_dscnt 0x1
	v_mul_f64_e32 v[20:21], v[250:251], v[246:247]
	v_mul_f64_e32 v[34:35], v[248:249], v[246:247]
	s_delay_alu instid0(VALU_DEP_2) | instskip(NEXT) | instid1(VALU_DEP_2)
	v_fma_f64 v[242:243], v[248:249], v[244:245], -v[20:21]
	v_fma_f64 v[244:245], v[250:251], v[244:245], v[34:35]
	ds_load_b128 v[246:249], v108 offset:14448
	ds_load_b128 v[34:37], v108 offset:15456
	s_wait_dscnt 0x1
	v_mul_f64_e32 v[20:21], v[248:249], v[254:255]
	v_mul_f64_e32 v[38:39], v[246:247], v[254:255]
	s_delay_alu instid0(VALU_DEP_2) | instskip(NEXT) | instid1(VALU_DEP_2)
	v_fma_f64 v[246:247], v[246:247], v[252:253], -v[20:21]
	v_fma_f64 v[248:249], v[248:249], v[252:253], v[38:39]
	ds_load_b128 v[250:253], v108 offset:22848
	ds_load_b128 v[38:41], v108 offset:23856
	s_wait_loadcnt_dscnt 0x1
	v_mul_f64_e32 v[20:21], v[252:253], v[28:29]
	v_mul_f64_e32 v[28:29], v[250:251], v[28:29]
	s_delay_alu instid0(VALU_DEP_2) | instskip(NEXT) | instid1(VALU_DEP_2)
	v_fma_f64 v[250:251], v[250:251], v[26:27], -v[20:21]
	v_fma_f64 v[252:253], v[252:253], v[26:27], v[28:29]
	v_mul_f64_e32 v[20:21], v[32:33], v[18:19]
	v_mul_f64_e32 v[26:27], v[30:31], v[18:19]
	;; [unrolled: 1-line block ×3, first 2 shown]
	s_delay_alu instid0(VALU_DEP_3) | instskip(NEXT) | instid1(VALU_DEP_3)
	v_fma_f64 v[18:19], v[30:31], v[16:17], -v[20:21]
	v_fma_f64 v[20:21], v[32:33], v[16:17], v[26:27]
	global_load_b128 v[30:33], v108, s[2:3] offset:23856
	v_mul_f64_e32 v[16:17], v[36:37], v[190:191]
	v_fma_f64 v[28:29], v[36:37], v[188:189], v[28:29]
	s_delay_alu instid0(VALU_DEP_2) | instskip(SKIP_3) | instid1(VALU_DEP_2)
	v_fma_f64 v[26:27], v[34:35], v[188:189], -v[16:17]
	s_wait_loadcnt_dscnt 0x0
	v_mul_f64_e32 v[16:17], v[40:41], v[32:33]
	v_mul_f64_e32 v[34:35], v[38:39], v[32:33]
	v_fma_f64 v[32:33], v[38:39], v[30:31], -v[16:17]
	s_delay_alu instid0(VALU_DEP_2)
	v_fma_f64 v[34:35], v[40:41], v[30:31], v[34:35]
	ds_store_b128 v108, v[0:3]
	ds_store_b128 v108, v[4:7] offset:1008
	ds_store_b128 v108, v[8:11] offset:8400
	;; [unrolled: 1-line block ×23, first 2 shown]
	s_and_saveexec_b32 s1, vcc_lo
	s_cbranch_execz .LBB0_17
; %bb.16:
	s_wait_alu 0xfffe
	v_add_co_u32 v8, s2, s2, v108
	s_wait_alu 0xf1ff
	v_add_co_ci_u32_e64 v9, null, s3, 0, s2
	s_clause 0x2
	global_load_b128 v[0:3], v[8:9], off offset:8064
	global_load_b128 v[4:7], v[8:9], off offset:16464
	;; [unrolled: 1-line block ×3, first 2 shown]
	ds_load_b128 v[12:15], v108 offset:8064
	ds_load_b128 v[16:19], v108 offset:16464
	;; [unrolled: 1-line block ×3, first 2 shown]
	s_wait_loadcnt_dscnt 0x202
	v_mul_f64_e32 v[24:25], v[14:15], v[2:3]
	v_mul_f64_e32 v[2:3], v[12:13], v[2:3]
	s_wait_loadcnt_dscnt 0x101
	v_mul_f64_e32 v[26:27], v[18:19], v[6:7]
	v_mul_f64_e32 v[6:7], v[16:17], v[6:7]
	;; [unrolled: 3-line block ×3, first 2 shown]
	v_fma_f64 v[10:11], v[12:13], v[0:1], -v[24:25]
	v_fma_f64 v[12:13], v[14:15], v[0:1], v[2:3]
	v_fma_f64 v[0:1], v[16:17], v[4:5], -v[26:27]
	v_fma_f64 v[2:3], v[18:19], v[4:5], v[6:7]
	;; [unrolled: 2-line block ×3, first 2 shown]
	ds_store_b128 v108, v[10:13] offset:8064
	ds_store_b128 v108, v[0:3] offset:16464
	;; [unrolled: 1-line block ×3, first 2 shown]
.LBB0_17:
	s_wait_alu 0xfffe
	s_or_b32 exec_lo, exec_lo, s1
	global_wb scope:SCOPE_SE
	s_wait_dscnt 0x0
	s_barrier_signal -1
	s_barrier_wait -1
	global_inv scope:SCOPE_SE
	ds_load_b128 v[180:183], v108
	ds_load_b128 v[184:187], v108 offset:1008
	ds_load_b128 v[16:19], v108 offset:8400
	;; [unrolled: 1-line block ×23, first 2 shown]
	s_and_saveexec_b32 s1, vcc_lo
	s_cbranch_execz .LBB0_19
; %bb.18:
	ds_load_b128 v[176:179], v108 offset:8064
	ds_load_b128 v[168:171], v108 offset:16464
	;; [unrolled: 1-line block ×3, first 2 shown]
.LBB0_19:
	s_wait_alu 0xfffe
	s_or_b32 exec_lo, exec_lo, s1
	s_wait_dscnt 0x15
	v_add_f64_e32 v[20:21], v[180:181], v[16:17]
	v_add_f64_e32 v[22:23], v[182:183], v[18:19]
	s_wait_dscnt 0x13
	v_add_f64_e32 v[34:35], v[18:19], v[14:15]
	v_add_f64_e64 v[36:37], v[18:19], -v[14:15]
	v_add_f64_e32 v[18:19], v[186:187], v[10:11]
	v_add_f64_e32 v[32:33], v[16:17], v[12:13]
	v_add_f64_e64 v[38:39], v[16:17], -v[12:13]
	s_wait_dscnt 0x12
	v_add_f64_e32 v[42:43], v[10:11], v[6:7]
	v_add_f64_e64 v[44:45], v[10:11], -v[6:7]
	s_wait_dscnt 0x3
	v_add_f64_e32 v[24:25], v[204:205], v[224:225]
	s_wait_dscnt 0x2
	v_add_f64_e32 v[28:29], v[208:209], v[216:217]
	v_add_f64_e32 v[16:17], v[184:185], v[8:9]
	;; [unrolled: 1-line block ×3, first 2 shown]
	v_add_f64_e64 v[46:47], v[8:9], -v[4:5]
	v_add_f64_e32 v[8:9], v[188:189], v[0:1]
	v_add_f64_e32 v[70:71], v[242:243], v[238:239]
	v_add_f64_e64 v[72:73], v[242:243], -v[238:239]
	v_add_f64_e32 v[76:77], v[232:233], v[228:229]
	v_add_f64_e32 v[78:79], v[234:235], v[230:231]
	v_add_f64_e64 v[109:110], v[234:235], -v[230:231]
	v_add_f64_e32 v[48:49], v[0:1], v[252:253]
	v_add_f64_e64 v[54:55], v[0:1], -v[252:253]
	s_mov_b32 s2, 0xe8584caa
	s_mov_b32 s3, 0xbfebb67a
	;; [unrolled: 1-line block ×3, first 2 shown]
	s_wait_alu 0xfffe
	s_mov_b32 s10, s2
	v_add_f64_e32 v[56:57], v[248:249], v[244:245]
	v_add_f64_e64 v[66:67], v[248:249], -v[244:245]
	global_wb scope:SCOPE_SE
	s_wait_dscnt 0x0
	s_barrier_signal -1
	s_barrier_wait -1
	global_inv scope:SCOPE_SE
	v_add_f64_e32 v[26:27], v[206:207], v[226:227]
	v_add_f64_e32 v[30:31], v[210:211], v[218:219]
	;; [unrolled: 1-line block ×3, first 2 shown]
	v_add_f64_e64 v[74:75], v[240:241], -v[236:237]
	v_add_f64_e32 v[10:11], v[190:191], v[2:3]
	v_add_f64_e32 v[50:51], v[2:3], v[254:255]
	;; [unrolled: 1-line block ×8, first 2 shown]
	v_add_f64_e64 v[232:233], v[232:233], -v[228:229]
	v_add_f64_e64 v[234:235], v[224:225], -v[220:221]
	;; [unrolled: 1-line block ×3, first 2 shown]
	v_add_f64_e32 v[24:25], v[24:25], v[220:221]
	v_add_f64_e32 v[28:29], v[28:29], v[212:213]
	;; [unrolled: 1-line block ×3, first 2 shown]
	v_fma_f64 v[40:41], v[40:41], -0.5, v[184:185]
	v_add_f64_e32 v[16:17], v[196:197], v[240:241]
	v_add_f64_e32 v[0:1], v[8:9], v[252:253]
	;; [unrolled: 1-line block ×3, first 2 shown]
	v_add_f64_e64 v[240:241], v[170:171], -v[174:175]
	v_fma_f64 v[42:43], v[42:43], -0.5, v[186:187]
	v_add_f64_e64 v[52:53], v[2:3], -v[254:255]
	v_add_f64_e32 v[58:59], v[250:251], v[246:247]
	v_add_f64_e64 v[64:65], v[250:251], -v[246:247]
	v_fma_f64 v[48:49], v[48:49], -0.5, v[188:189]
	v_fma_f64 v[70:71], v[70:71], -0.5, v[198:199]
	;; [unrolled: 1-line block ×5, first 2 shown]
	v_add_f64_e32 v[26:27], v[26:27], v[222:223]
	v_add_f64_e32 v[30:31], v[30:31], v[214:215]
	v_fma_f64 v[68:69], v[68:69], -0.5, v[196:197]
	v_add_f64_e32 v[2:3], v[10:11], v[254:255]
	v_add_f64_e32 v[10:11], v[194:195], v[250:251]
	v_fma_f64 v[50:51], v[50:51], -0.5, v[190:191]
	v_add_f64_e32 v[20:21], v[20:21], v[228:229]
	v_add_f64_e32 v[228:229], v[224:225], v[220:221]
	;; [unrolled: 1-line block ×5, first 2 shown]
	v_add_f64_e64 v[238:239], v[216:217], -v[212:213]
	v_add_f64_e32 v[212:213], v[176:177], v[168:169]
	v_add_f64_e32 v[216:217], v[168:169], v[172:173]
	;; [unrolled: 1-line block ×3, first 2 shown]
	v_add_f64_e64 v[226:227], v[226:227], -v[222:223]
	v_add_f64_e32 v[222:223], v[218:219], v[214:215]
	v_add_f64_e32 v[16:17], v[16:17], v[236:237]
	v_add_f64_e64 v[236:237], v[218:219], -v[214:215]
	v_add_f64_e32 v[8:9], v[8:9], v[244:245]
	v_add_f64_e32 v[214:215], v[178:179], v[170:171]
	;; [unrolled: 1-line block ×3, first 2 shown]
	v_fma_f64 v[58:59], v[58:59], -0.5, v[194:195]
	s_wait_alu 0xfffe
	v_fma_f64 v[184:185], v[52:53], s[10:11], v[48:49]
	v_fma_f64 v[198:199], v[74:75], s[10:11], v[70:71]
	v_fma_f64 v[202:203], v[74:75], s[2:3], v[70:71]
	v_fma_f64 v[188:189], v[64:65], s[2:3], v[56:57]
	v_fma_f64 v[192:193], v[64:65], s[10:11], v[56:57]
	v_fma_f64 v[196:197], v[72:73], s[2:3], v[68:69]
	v_fma_f64 v[200:201], v[72:73], s[10:11], v[68:69]
	v_add_f64_e32 v[10:11], v[10:11], v[246:247]
	v_fma_f64 v[186:187], v[54:55], s[2:3], v[50:51]
	v_fma_f64 v[204:205], v[228:229], -0.5, v[204:205]
	v_fma_f64 v[208:209], v[220:221], -0.5, v[208:209]
	v_add_f64_e32 v[168:169], v[212:213], v[172:173]
	v_fma_f64 v[172:173], v[32:33], -0.5, v[180:181]
	v_fma_f64 v[244:245], v[216:217], -0.5, v[176:177]
	v_fma_f64 v[176:177], v[44:45], s[10:11], v[40:41]
	v_fma_f64 v[180:181], v[52:53], s[2:3], v[48:49]
	;; [unrolled: 1-line block ×4, first 2 shown]
	v_fma_f64 v[206:207], v[230:231], -0.5, v[206:207]
	v_fma_f64 v[210:211], v[222:223], -0.5, v[210:211]
	v_add_f64_e32 v[170:171], v[214:215], v[174:175]
	v_fma_f64 v[174:175], v[34:35], -0.5, v[182:183]
	v_fma_f64 v[246:247], v[218:219], -0.5, v[178:179]
	v_fma_f64 v[178:179], v[46:47], s[2:3], v[42:43]
	v_fma_f64 v[182:183], v[54:55], s[10:11], v[50:51]
	;; [unrolled: 1-line block ×13, first 2 shown]
	scratch_load_b32 v40, off, off offset:572 th:TH_LOAD_LU ; 4-byte Folded Reload
	v_fma_f64 v[204:205], v[240:241], s[2:3], v[244:245]
	v_fma_f64 v[208:209], v[240:241], s[10:11], v[244:245]
	v_fma_f64 v[222:223], v[234:235], s[10:11], v[206:207]
	v_fma_f64 v[226:227], v[234:235], s[2:3], v[206:207]
	v_fma_f64 v[230:231], v[238:239], s[10:11], v[210:211]
	v_fma_f64 v[34:35], v[38:39], s[10:11], v[174:175]
	v_fma_f64 v[38:39], v[38:39], s[2:3], v[174:175]
	v_fma_f64 v[174:175], v[46:47], s[10:11], v[42:43]
	v_fma_f64 v[234:235], v[238:239], s[2:3], v[210:211]
	v_fma_f64 v[206:207], v[242:243], s[10:11], v[246:247]
	v_fma_f64 v[210:211], v[242:243], s[2:3], v[246:247]
	s_wait_loadcnt 0x0
	ds_store_b128 v40, v[12:15]
	ds_store_b128 v40, v[32:35] offset:16
	ds_store_b128 v40, v[36:39] offset:32
	scratch_load_b32 v12, off, off offset:548 th:TH_LOAD_LU ; 4-byte Folded Reload
	s_wait_loadcnt 0x0
	ds_store_b128 v12, v[4:7]
	ds_store_b128 v12, v[172:175] offset:16
	ds_store_b128 v12, v[176:179] offset:32
	scratch_load_b32 v4, off, off offset:576 th:TH_LOAD_LU ; 4-byte Folded Reload
	s_wait_loadcnt 0x0
	ds_store_b128 v4, v[0:3]
	ds_store_b128 v4, v[180:183] offset:16
	ds_store_b128 v4, v[184:187] offset:32
	scratch_load_b32 v0, off, off offset:568 th:TH_LOAD_LU ; 4-byte Folded Reload
	s_wait_loadcnt 0x0
	ds_store_b128 v0, v[8:11]
	ds_store_b128 v0, v[188:191] offset:16
	ds_store_b128 v0, v[192:195] offset:32
	scratch_load_b32 v0, off, off offset:584 th:TH_LOAD_LU ; 4-byte Folded Reload
	s_wait_loadcnt 0x0
	ds_store_b128 v0, v[16:19]
	ds_store_b128 v0, v[196:199] offset:16
	ds_store_b128 v0, v[200:203] offset:32
	scratch_load_b32 v0, off, off offset:580 th:TH_LOAD_LU ; 4-byte Folded Reload
	s_wait_loadcnt 0x0
	ds_store_b128 v0, v[20:23]
	ds_store_b128 v0, v[212:215] offset:16
	ds_store_b128 v0, v[216:219] offset:32
	scratch_load_b32 v0, off, off offset:592 th:TH_LOAD_LU ; 4-byte Folded Reload
	s_wait_loadcnt 0x0
	ds_store_b128 v0, v[24:27]
	ds_store_b128 v0, v[220:223] offset:16
	ds_store_b128 v0, v[224:227] offset:32
	scratch_load_b32 v0, off, off offset:588 th:TH_LOAD_LU ; 4-byte Folded Reload
	s_wait_loadcnt 0x0
	ds_store_b128 v0, v[28:31]
	ds_store_b128 v0, v[228:231] offset:16
	ds_store_b128 v0, v[232:235] offset:32
	s_and_saveexec_b32 s1, vcc_lo
	s_cbranch_execz .LBB0_21
; %bb.20:
	scratch_load_b32 v0, off, off offset:1392 th:TH_LOAD_LU ; 4-byte Folded Reload
	s_wait_loadcnt 0x0
	v_lshlrev_b32_e32 v0, 4, v0
	ds_store_b128 v0, v[168:171]
	ds_store_b128 v0, v[204:207] offset:16
	ds_store_b128 v0, v[208:211] offset:32
.LBB0_21:
	s_wait_alu 0xfffe
	s_or_b32 exec_lo, exec_lo, s1
	global_wb scope:SCOPE_SE
	s_wait_dscnt 0x0
	s_barrier_signal -1
	s_barrier_wait -1
	global_inv scope:SCOPE_SE
	ds_load_b128 v[200:203], v108
	ds_load_b128 v[196:199], v108 offset:1008
	ds_load_b128 v[252:255], v108 offset:8400
	;; [unrolled: 1-line block ×23, first 2 shown]
	s_and_saveexec_b32 s1, vcc_lo
	s_cbranch_execz .LBB0_23
; %bb.22:
	ds_load_b128 v[168:171], v108 offset:8064
	ds_load_b128 v[204:207], v108 offset:16464
	;; [unrolled: 1-line block ×3, first 2 shown]
.LBB0_23:
	s_wait_alu 0xfffe
	s_or_b32 exec_lo, exec_lo, s1
	s_clause 0x1
	scratch_load_b128 v[24:27], off, off offset:596 th:TH_LOAD_LU
	scratch_load_b128 v[36:39], off, off offset:860 th:TH_LOAD_LU
	s_mov_b32 s10, s2
	s_wait_loadcnt_dscnt 0x115
	v_mul_f64_e32 v[20:21], v[26:27], v[254:255]
	v_mul_f64_e32 v[22:23], v[26:27], v[252:253]
	scratch_load_b128 v[26:29], off, off offset:828 th:TH_LOAD_LU ; 16-byte Folded Reload
	v_fma_f64 v[20:21], v[24:25], v[252:253], v[20:21]
	v_fma_f64 v[22:23], v[24:25], v[254:255], -v[22:23]
	s_wait_loadcnt_dscnt 0x13
	v_mul_f64_e32 v[24:25], v[28:29], v[18:19]
	s_delay_alu instid0(VALU_DEP_1) | instskip(SKIP_1) | instid1(VALU_DEP_1)
	v_fma_f64 v[24:25], v[26:27], v[16:17], v[24:25]
	v_mul_f64_e32 v[16:17], v[28:29], v[16:17]
	v_fma_f64 v[16:17], v[26:27], v[18:19], -v[16:17]
	scratch_load_b128 v[26:29], off, off offset:844 th:TH_LOAD_LU ; 16-byte Folded Reload
	s_wait_loadcnt 0x0
	v_mul_f64_e32 v[18:19], v[28:29], v[250:251]
	s_delay_alu instid0(VALU_DEP_1) | instskip(SKIP_1) | instid1(VALU_DEP_1)
	v_fma_f64 v[32:33], v[26:27], v[248:249], v[18:19]
	v_mul_f64_e32 v[18:19], v[28:29], v[248:249]
	v_fma_f64 v[28:29], v[26:27], v[250:251], -v[18:19]
	s_wait_dscnt 0x12
	v_mul_f64_e32 v[18:19], v[38:39], v[246:247]
	s_delay_alu instid0(VALU_DEP_1) | instskip(SKIP_1) | instid1(VALU_DEP_1)
	v_fma_f64 v[34:35], v[36:37], v[244:245], v[18:19]
	v_mul_f64_e32 v[18:19], v[38:39], v[244:245]
	v_fma_f64 v[30:31], v[36:37], v[246:247], -v[18:19]
	scratch_load_b128 v[36:39], off, off offset:892 th:TH_LOAD_LU ; 16-byte Folded Reload
	s_wait_loadcnt_dscnt 0xf
	v_mul_f64_e32 v[18:19], v[38:39], v[242:243]
	s_delay_alu instid0(VALU_DEP_1) | instskip(SKIP_1) | instid1(VALU_DEP_1)
	v_fma_f64 v[40:41], v[36:37], v[240:241], v[18:19]
	v_mul_f64_e32 v[18:19], v[38:39], v[240:241]
	v_fma_f64 v[42:43], v[36:37], v[242:243], -v[18:19]
	scratch_load_b128 v[36:39], off, off offset:908 th:TH_LOAD_LU ; 16-byte Folded Reload
	s_wait_loadcnt_dscnt 0xd
	v_mul_f64_e32 v[18:19], v[38:39], v[238:239]
	s_delay_alu instid0(VALU_DEP_1) | instskip(SKIP_1) | instid1(VALU_DEP_1)
	v_fma_f64 v[44:45], v[36:37], v[236:237], v[18:19]
	v_mul_f64_e32 v[18:19], v[38:39], v[236:237]
	v_fma_f64 v[46:47], v[36:37], v[238:239], -v[18:19]
	scratch_load_b128 v[36:39], off, off offset:876 th:TH_LOAD_LU ; 16-byte Folded Reload
	s_wait_loadcnt 0x0
	v_mul_f64_e32 v[18:19], v[38:39], v[234:235]
	s_delay_alu instid0(VALU_DEP_1) | instskip(SKIP_1) | instid1(VALU_DEP_1)
	v_fma_f64 v[48:49], v[36:37], v[232:233], v[18:19]
	v_mul_f64_e32 v[18:19], v[38:39], v[232:233]
	v_fma_f64 v[50:51], v[36:37], v[234:235], -v[18:19]
	scratch_load_b128 v[36:39], off, off offset:924 th:TH_LOAD_LU ; 16-byte Folded Reload
	s_wait_loadcnt_dscnt 0xc
	v_mul_f64_e32 v[18:19], v[38:39], v[226:227]
	s_delay_alu instid0(VALU_DEP_1) | instskip(SKIP_1) | instid1(VALU_DEP_1)
	v_fma_f64 v[52:53], v[36:37], v[224:225], v[18:19]
	v_mul_f64_e32 v[18:19], v[38:39], v[224:225]
	v_fma_f64 v[54:55], v[36:37], v[226:227], -v[18:19]
	scratch_load_b128 v[36:39], off, off offset:940 th:TH_LOAD_LU ; 16-byte Folded Reload
	s_wait_loadcnt_dscnt 0x9
	;; [unrolled: 7-line block ×3, first 2 shown]
	v_mul_f64_e32 v[18:19], v[38:39], v[222:223]
	s_delay_alu instid0(VALU_DEP_1) | instskip(SKIP_1) | instid1(VALU_DEP_1)
	v_fma_f64 v[64:65], v[36:37], v[220:221], v[18:19]
	v_mul_f64_e32 v[18:19], v[38:39], v[220:221]
	v_fma_f64 v[66:67], v[36:37], v[222:223], -v[18:19]
	scratch_load_b128 v[36:39], off, off offset:972 th:TH_LOAD_LU ; 16-byte Folded Reload
	s_wait_loadcnt 0x0
	v_mul_f64_e32 v[18:19], v[38:39], v[218:219]
	s_delay_alu instid0(VALU_DEP_1) | instskip(SKIP_1) | instid1(VALU_DEP_1)
	v_fma_f64 v[68:69], v[36:37], v[216:217], v[18:19]
	v_mul_f64_e32 v[18:19], v[38:39], v[216:217]
	v_fma_f64 v[70:71], v[36:37], v[218:219], -v[18:19]
	scratch_load_b128 v[36:39], off, off offset:988 th:TH_LOAD_LU ; 16-byte Folded Reload
	s_wait_loadcnt_dscnt 0x6
	v_mul_f64_e32 v[18:19], v[38:39], v[14:15]
	s_delay_alu instid0(VALU_DEP_1) | instskip(SKIP_2) | instid1(VALU_DEP_2)
	v_fma_f64 v[72:73], v[36:37], v[12:13], v[18:19]
	v_mul_f64_e32 v[12:13], v[38:39], v[12:13]
	v_add_f64_e32 v[18:19], v[22:23], v[16:17]
	v_fma_f64 v[74:75], v[36:37], v[14:15], -v[12:13]
	scratch_load_b128 v[36:39], off, off offset:1052 th:TH_LOAD_LU ; 16-byte Folded Reload
	v_fma_f64 v[26:27], v[18:19], -0.5, v[202:203]
	v_add_f64_e32 v[18:19], v[202:203], v[22:23]
	v_add_f64_e64 v[22:23], v[22:23], -v[16:17]
	s_delay_alu instid0(VALU_DEP_2) | instskip(SKIP_2) | instid1(VALU_DEP_1)
	v_add_f64_e32 v[18:19], v[18:19], v[16:17]
	s_wait_loadcnt_dscnt 0x3
	v_mul_f64_e32 v[12:13], v[38:39], v[214:215]
	v_fma_f64 v[76:77], v[36:37], v[212:213], v[12:13]
	v_mul_f64_e32 v[12:13], v[38:39], v[212:213]
	s_delay_alu instid0(VALU_DEP_1) | instskip(SKIP_3) | instid1(VALU_DEP_1)
	v_fma_f64 v[78:79], v[36:37], v[214:215], -v[12:13]
	scratch_load_b128 v[36:39], off, off offset:1068 th:TH_LOAD_LU ; 16-byte Folded Reload
	s_wait_loadcnt_dscnt 0x1
	v_mul_f64_e32 v[12:13], v[38:39], v[10:11]
	v_fma_f64 v[109:110], v[36:37], v[8:9], v[12:13]
	v_mul_f64_e32 v[8:9], v[38:39], v[8:9]
	s_delay_alu instid0(VALU_DEP_1)
	v_fma_f64 v[228:229], v[36:37], v[10:11], -v[8:9]
	s_clause 0x1
	scratch_load_b128 v[10:13], off, off offset:1084 th:TH_LOAD_LU
	scratch_load_b128 v[36:39], off, off offset:1036 th:TH_LOAD_LU
	s_wait_loadcnt 0x1
	v_mul_f64_e32 v[8:9], v[12:13], v[6:7]
	s_delay_alu instid0(VALU_DEP_1) | instskip(SKIP_1) | instid1(VALU_DEP_1)
	v_fma_f64 v[236:237], v[10:11], v[4:5], v[8:9]
	v_mul_f64_e32 v[4:5], v[12:13], v[4:5]
	v_fma_f64 v[4:5], v[10:11], v[6:7], -v[4:5]
	scratch_load_b128 v[8:11], off, off offset:1004 th:TH_LOAD_LU ; 16-byte Folded Reload
	s_wait_loadcnt_dscnt 0x0
	v_mul_f64_e32 v[6:7], v[10:11], v[2:3]
	s_delay_alu instid0(VALU_DEP_1)
	v_fma_f64 v[6:7], v[8:9], v[0:1], v[6:7]
	v_mul_f64_e32 v[0:1], v[10:11], v[0:1]
	scratch_load_b128 v[10:13], off, off offset:1020 th:TH_LOAD_LU ; 16-byte Folded Reload
	global_wb scope:SCOPE_SE
	s_wait_loadcnt 0x0
	s_barrier_signal -1
	s_barrier_wait -1
	global_inv scope:SCOPE_SE
	v_fma_f64 v[0:1], v[8:9], v[2:3], -v[0:1]
	v_mul_f64_e32 v[2:3], v[12:13], v[206:207]
	s_delay_alu instid0(VALU_DEP_1) | instskip(SKIP_1) | instid1(VALU_DEP_1)
	v_fma_f64 v[8:9], v[10:11], v[204:205], v[2:3]
	v_mul_f64_e32 v[2:3], v[12:13], v[204:205]
	v_fma_f64 v[14:15], v[10:11], v[206:207], -v[2:3]
	v_mul_f64_e32 v[2:3], v[38:39], v[210:211]
	s_delay_alu instid0(VALU_DEP_1) | instskip(SKIP_1) | instid1(VALU_DEP_1)
	v_fma_f64 v[10:11], v[36:37], v[208:209], v[2:3]
	v_mul_f64_e32 v[2:3], v[38:39], v[208:209]
	v_fma_f64 v[12:13], v[36:37], v[210:211], -v[2:3]
	v_add_f64_e32 v[2:3], v[20:21], v[24:25]
	v_add_f64_e32 v[36:37], v[200:201], v[20:21]
	s_delay_alu instid0(VALU_DEP_2) | instskip(NEXT) | instid1(VALU_DEP_2)
	v_fma_f64 v[2:3], v[2:3], -0.5, v[200:201]
	v_add_f64_e32 v[16:17], v[36:37], v[24:25]
	v_add_f64_e64 v[36:37], v[20:21], -v[24:25]
	s_delay_alu instid0(VALU_DEP_3) | instskip(SKIP_3) | instid1(VALU_DEP_4)
	v_fma_f64 v[20:21], v[22:23], s[2:3], v[2:3]
	s_wait_alu 0xfffe
	v_fma_f64 v[24:25], v[22:23], s[10:11], v[2:3]
	v_add_f64_e32 v[2:3], v[32:33], v[34:35]
	v_fma_f64 v[22:23], v[36:37], s[10:11], v[26:27]
	v_fma_f64 v[26:27], v[36:37], s[2:3], v[26:27]
	v_add_f64_e32 v[36:37], v[28:29], v[30:31]
	s_delay_alu instid0(VALU_DEP_4) | instskip(SKIP_1) | instid1(VALU_DEP_3)
	v_fma_f64 v[2:3], v[2:3], -0.5, v[196:197]
	v_add_f64_e32 v[196:197], v[196:197], v[32:33]
	v_fma_f64 v[38:39], v[36:37], -0.5, v[198:199]
	v_add_f64_e32 v[36:37], v[198:199], v[28:29]
	v_add_f64_e64 v[198:199], v[28:29], -v[30:31]
	s_delay_alu instid0(VALU_DEP_4) | instskip(SKIP_1) | instid1(VALU_DEP_4)
	v_add_f64_e32 v[28:29], v[196:197], v[34:35]
	v_add_f64_e64 v[196:197], v[32:33], -v[34:35]
	v_add_f64_e32 v[30:31], v[36:37], v[30:31]
	s_delay_alu instid0(VALU_DEP_4)
	v_fma_f64 v[32:33], v[198:199], s[2:3], v[2:3]
	v_fma_f64 v[36:37], v[198:199], s[10:11], v[2:3]
	v_add_f64_e32 v[2:3], v[40:41], v[44:45]
	v_fma_f64 v[34:35], v[196:197], s[10:11], v[38:39]
	v_fma_f64 v[38:39], v[196:197], s[2:3], v[38:39]
	v_add_f64_e32 v[196:197], v[42:43], v[46:47]
	s_delay_alu instid0(VALU_DEP_4) | instskip(SKIP_2) | instid1(VALU_DEP_4)
	v_fma_f64 v[2:3], v[2:3], -0.5, v[192:193]
	v_add_f64_e32 v[192:193], v[192:193], v[40:41]
	v_add_f64_e64 v[40:41], v[40:41], -v[44:45]
	v_fma_f64 v[202:203], v[196:197], -0.5, v[194:195]
	v_add_f64_e32 v[194:195], v[194:195], v[42:43]
	v_add_f64_e64 v[42:43], v[42:43], -v[46:47]
	v_add_f64_e32 v[192:193], v[192:193], v[44:45]
	v_add_f64_e32 v[44:45], v[188:189], v[48:49]
	v_fma_f64 v[198:199], v[40:41], s[10:11], v[202:203]
	v_fma_f64 v[202:203], v[40:41], s[2:3], v[202:203]
	v_fma_f64 v[196:197], v[42:43], s[2:3], v[2:3]
	v_fma_f64 v[200:201], v[42:43], s[10:11], v[2:3]
	v_add_f64_e32 v[40:41], v[50:51], v[54:55]
	v_add_f64_e32 v[42:43], v[190:191], v[50:51]
	;; [unrolled: 1-line block ×4, first 2 shown]
	v_add_f64_e64 v[46:47], v[50:51], -v[54:55]
	v_fma_f64 v[40:41], v[40:41], -0.5, v[190:191]
	v_add_f64_e32 v[190:191], v[42:43], v[54:55]
	v_add_f64_e64 v[42:43], v[48:49], -v[52:53]
	v_fma_f64 v[2:3], v[2:3], -0.5, v[188:189]
	v_add_f64_e32 v[188:189], v[44:45], v[52:53]
	v_add_f64_e32 v[44:45], v[184:185], v[56:57]
	s_delay_alu instid0(VALU_DEP_4)
	v_fma_f64 v[206:207], v[42:43], s[10:11], v[40:41]
	v_fma_f64 v[210:211], v[42:43], s[2:3], v[40:41]
	v_add_f64_e32 v[40:41], v[58:59], v[66:67]
	v_add_f64_e32 v[42:43], v[186:187], v[58:59]
	v_fma_f64 v[204:205], v[46:47], s[2:3], v[2:3]
	v_fma_f64 v[208:209], v[46:47], s[10:11], v[2:3]
	v_add_f64_e32 v[2:3], v[56:57], v[64:65]
	v_add_f64_e64 v[46:47], v[58:59], -v[66:67]
	v_fma_f64 v[40:41], v[40:41], -0.5, v[186:187]
	v_add_f64_e32 v[186:187], v[42:43], v[66:67]
	v_add_f64_e64 v[42:43], v[56:57], -v[64:65]
	v_fma_f64 v[2:3], v[2:3], -0.5, v[184:185]
	v_add_f64_e32 v[184:185], v[44:45], v[64:65]
	v_add_f64_e32 v[44:45], v[180:181], v[68:69]
	s_delay_alu instid0(VALU_DEP_4)
	v_fma_f64 v[214:215], v[42:43], s[10:11], v[40:41]
	v_fma_f64 v[218:219], v[42:43], s[2:3], v[40:41]
	v_add_f64_e32 v[40:41], v[70:71], v[74:75]
	v_add_f64_e32 v[42:43], v[182:183], v[70:71]
	v_fma_f64 v[212:213], v[46:47], s[2:3], v[2:3]
	v_fma_f64 v[216:217], v[46:47], s[10:11], v[2:3]
	v_add_f64_e32 v[2:3], v[68:69], v[72:73]
	;; [unrolled: 15-line block ×4, first 2 shown]
	v_add_f64_e64 v[4:5], v[4:5], -v[0:1]
	v_fma_f64 v[40:41], v[40:41], -0.5, v[174:175]
	v_add_f64_e32 v[174:175], v[42:43], v[0:1]
	v_add_f64_e64 v[0:1], v[236:237], -v[6:7]
	v_fma_f64 v[2:3], v[2:3], -0.5, v[172:173]
	v_add_f64_e32 v[172:173], v[44:45], v[6:7]
	s_delay_alu instid0(VALU_DEP_3)
	v_fma_f64 v[238:239], v[0:1], s[10:11], v[40:41]
	v_fma_f64 v[242:243], v[0:1], s[2:3], v[40:41]
	v_add_f64_e32 v[0:1], v[8:9], v[10:11]
	v_fma_f64 v[236:237], v[4:5], s[2:3], v[2:3]
	v_fma_f64 v[240:241], v[4:5], s[10:11], v[2:3]
	v_add_f64_e64 v[4:5], v[14:15], -v[12:13]
	v_add_f64_e64 v[40:41], v[8:9], -v[10:11]
	v_fma_f64 v[2:3], v[0:1], -0.5, v[168:169]
	v_add_f64_e32 v[0:1], v[14:15], v[12:13]
	s_delay_alu instid0(VALU_DEP_1) | instskip(NEXT) | instid1(VALU_DEP_3)
	v_fma_f64 v[6:7], v[0:1], -0.5, v[170:171]
	v_fma_f64 v[0:1], v[4:5], s[2:3], v[2:3]
	v_fma_f64 v[4:5], v[4:5], s[10:11], v[2:3]
	s_delay_alu instid0(VALU_DEP_3)
	v_fma_f64 v[2:3], v[40:41], s[10:11], v[6:7]
	v_fma_f64 v[6:7], v[40:41], s[2:3], v[6:7]
	scratch_load_b32 v40, off, off offset:776 th:TH_LOAD_LU ; 4-byte Folded Reload
	s_wait_loadcnt 0x0
	ds_store_b128 v40, v[16:19]
	ds_store_b128 v40, v[20:23] offset:48
	ds_store_b128 v40, v[24:27] offset:96
	scratch_load_b32 v16, off, off offset:772 th:TH_LOAD_LU ; 4-byte Folded Reload
	s_wait_loadcnt 0x0
	ds_store_b128 v16, v[28:31]
	ds_store_b128 v16, v[32:35] offset:48
	ds_store_b128 v16, v[36:39] offset:96
	scratch_load_b32 v16, off, off offset:720 th:TH_LOAD_LU ; 4-byte Folded Reload
	s_wait_loadcnt 0x0
	ds_store_b128 v16, v[192:195]
	ds_store_b128 v16, v[196:199] offset:48
	ds_store_b128 v16, v[200:203] offset:96
	scratch_load_b32 v16, off, off offset:700 th:TH_LOAD_LU ; 4-byte Folded Reload
	s_wait_loadcnt 0x0
	ds_store_b128 v16, v[188:191]
	ds_store_b128 v16, v[204:207] offset:48
	ds_store_b128 v16, v[208:211] offset:96
	scratch_load_b32 v16, off, off offset:664 th:TH_LOAD_LU ; 4-byte Folded Reload
	s_wait_loadcnt 0x0
	ds_store_b128 v16, v[184:187]
	ds_store_b128 v16, v[212:215] offset:48
	ds_store_b128 v16, v[216:219] offset:96
	scratch_load_b32 v16, off, off offset:660 th:TH_LOAD_LU ; 4-byte Folded Reload
	s_wait_loadcnt 0x0
	ds_store_b128 v16, v[180:183]
	ds_store_b128 v16, v[220:223] offset:48
	ds_store_b128 v16, v[224:227] offset:96
	scratch_load_b32 v16, off, off offset:656 th:TH_LOAD_LU ; 4-byte Folded Reload
	s_wait_loadcnt 0x0
	ds_store_b128 v16, v[176:179]
	ds_store_b128 v16, v[228:231] offset:48
	ds_store_b128 v16, v[232:235] offset:96
	scratch_load_b32 v16, off, off offset:652 th:TH_LOAD_LU ; 4-byte Folded Reload
	s_wait_loadcnt 0x0
	ds_store_b128 v16, v[172:175]
	ds_store_b128 v16, v[236:239] offset:48
	ds_store_b128 v16, v[240:243] offset:96
	s_and_saveexec_b32 s1, vcc_lo
	s_cbranch_execz .LBB0_25
; %bb.24:
	v_add_f64_e32 v[8:9], v[168:169], v[8:9]
	v_add_f64_e32 v[14:15], v[170:171], v[14:15]
	s_delay_alu instid0(VALU_DEP_2) | instskip(SKIP_4) | instid1(VALU_DEP_1)
	v_add_f64_e32 v[10:11], v[8:9], v[10:11]
	scratch_load_b32 v8, off, off offset:632 th:TH_LOAD_LU ; 4-byte Folded Reload
	v_add_f64_e32 v[12:13], v[14:15], v[12:13]
	s_wait_loadcnt 0x0
	v_and_b32_e32 v8, 0xffff, v8
	v_lshlrev_b32_e32 v8, 4, v8
	ds_store_b128 v8, v[0:3] offset:48
	ds_store_b128 v8, v[10:13]
	ds_store_b128 v8, v[4:7] offset:96
.LBB0_25:
	s_wait_alu 0xfffe
	s_or_b32 exec_lo, exec_lo, s1
	global_wb scope:SCOPE_SE
	s_wait_dscnt 0x0
	s_barrier_signal -1
	s_barrier_wait -1
	global_inv scope:SCOPE_SE
	ds_load_b128 v[176:179], v108 offset:10080
	ds_load_b128 v[8:11], v108 offset:15120
	;; [unrolled: 1-line block ×3, first 2 shown]
	scratch_load_b128 v[22:25], off, off offset:616 th:TH_LOAD_LU ; 16-byte Folded Reload
	ds_load_b128 v[172:175], v108 offset:5040
	ds_load_b128 v[168:171], v108 offset:14112
	s_mov_b32 s2, 0x134454ff
	s_mov_b32 s3, 0xbfee6f0e
	;; [unrolled: 1-line block ×3, first 2 shown]
	s_wait_alu 0xfffe
	s_mov_b32 s16, s2
	s_mov_b32 s10, 0x4755a5e
	;; [unrolled: 1-line block ×4, first 2 shown]
	s_wait_alu 0xfffe
	s_mov_b32 s14, s10
	s_mov_b32 s12, 0x372fe950
	;; [unrolled: 1-line block ×3, first 2 shown]
	scratch_load_b128 v[34:37], off, off offset:452 th:TH_LOAD_LU ; 16-byte Folded Reload
	s_wait_loadcnt_dscnt 0x104
	v_mul_f64_e32 v[16:17], v[24:25], v[178:179]
	v_mul_f64_e32 v[20:21], v[24:25], v[176:177]
	scratch_load_b128 v[24:27], off, off offset:468 th:TH_LOAD_LU ; 16-byte Folded Reload
	v_fma_f64 v[18:19], v[22:23], v[176:177], v[16:17]
	v_fma_f64 v[16:17], v[22:23], v[178:179], -v[20:21]
	ds_load_b128 v[20:23], v108 offset:4032
	s_wait_loadcnt_dscnt 0x102
	v_mul_f64_e32 v[28:29], v[36:37], v[174:175]
	v_mul_f64_e32 v[30:31], v[36:37], v[172:173]
	s_delay_alu instid0(VALU_DEP_2) | instskip(NEXT) | instid1(VALU_DEP_2)
	v_fma_f64 v[40:41], v[34:35], v[172:173], v[28:29]
	v_fma_f64 v[42:43], v[34:35], v[174:175], -v[30:31]
	s_wait_loadcnt 0x0
	v_mul_f64_e32 v[180:181], v[26:27], v[10:11]
	v_mul_f64_e32 v[182:183], v[26:27], v[8:9]
	s_delay_alu instid0(VALU_DEP_2) | instskip(NEXT) | instid1(VALU_DEP_2)
	v_fma_f64 v[36:37], v[24:25], v[8:9], v[180:181]
	v_fma_f64 v[38:39], v[24:25], v[10:11], -v[182:183]
	ds_load_b128 v[8:11], v108 offset:20160
	ds_load_b128 v[24:27], v108 offset:21168
	s_clause 0x1
	scratch_load_b128 v[48:51], off, off offset:484 th:TH_LOAD_LU
	scratch_load_b128 v[52:55], off, off offset:500 th:TH_LOAD_LU
	s_wait_loadcnt_dscnt 0x101
	v_mul_f64_e32 v[32:33], v[50:51], v[10:11]
	v_mul_f64_e32 v[28:29], v[50:51], v[8:9]
	s_wait_loadcnt 0x0
	v_mul_f64_e32 v[34:35], v[54:55], v[14:15]
	v_mul_f64_e32 v[44:45], v[54:55], v[12:13]
	s_delay_alu instid0(VALU_DEP_4) | instskip(NEXT) | instid1(VALU_DEP_4)
	v_fma_f64 v[46:47], v[48:49], v[8:9], v[32:33]
	v_fma_f64 v[48:49], v[48:49], v[10:11], -v[28:29]
	ds_load_b128 v[8:11], v108 offset:16128
	ds_load_b128 v[28:31], v108 offset:17136
	s_clause 0x2
	scratch_load_b128 v[54:57], off, off offset:516 th:TH_LOAD_LU
	scratch_load_b128 v[64:67], off, off offset:420 th:TH_LOAD_LU
	;; [unrolled: 1-line block ×3, first 2 shown]
	v_fma_f64 v[50:51], v[52:53], v[12:13], v[34:35]
	v_fma_f64 v[44:45], v[52:53], v[14:15], -v[44:45]
	ds_load_b128 v[12:15], v108 offset:6048
	s_wait_loadcnt_dscnt 0x202
	v_mul_f64_e32 v[32:33], v[56:57], v[10:11]
	v_mul_f64_e32 v[34:35], v[56:57], v[8:9]
	s_delay_alu instid0(VALU_DEP_2) | instskip(NEXT) | instid1(VALU_DEP_2)
	v_fma_f64 v[52:53], v[54:55], v[8:9], v[32:33]
	v_fma_f64 v[54:55], v[54:55], v[10:11], -v[34:35]
	ds_load_b128 v[8:11], v108 offset:7056
	s_wait_loadcnt_dscnt 0x101
	v_mul_f64_e32 v[32:33], v[66:67], v[14:15]
	v_mul_f64_e32 v[34:35], v[66:67], v[12:13]
	scratch_load_b128 v[66:69], off, off offset:552 th:TH_LOAD_LU ; 16-byte Folded Reload
	v_fma_f64 v[58:59], v[64:65], v[12:13], v[32:33]
	v_fma_f64 v[64:65], v[64:65], v[14:15], -v[34:35]
	s_wait_loadcnt_dscnt 0x100
	v_mul_f64_e32 v[32:33], v[74:75], v[10:11]
	v_mul_f64_e32 v[34:35], v[74:75], v[8:9]
	s_delay_alu instid0(VALU_DEP_2) | instskip(NEXT) | instid1(VALU_DEP_2)
	v_fma_f64 v[70:71], v[72:73], v[8:9], v[32:33]
	v_fma_f64 v[72:73], v[72:73], v[10:11], -v[34:35]
	s_wait_loadcnt 0x0
	v_mul_f64_e32 v[56:57], v[68:69], v[26:27]
	v_mul_f64_e32 v[12:13], v[68:69], v[24:25]
	s_delay_alu instid0(VALU_DEP_2) | instskip(NEXT) | instid1(VALU_DEP_2)
	v_fma_f64 v[56:57], v[66:67], v[24:25], v[56:57]
	v_fma_f64 v[66:67], v[66:67], v[26:27], -v[12:13]
	ds_load_b128 v[12:15], v108 offset:12096
	ds_load_b128 v[24:27], v108 offset:13104
	s_clause 0x1
	scratch_load_b128 v[74:77], off, off offset:532 th:TH_LOAD_LU
	scratch_load_b128 v[176:179], off, off offset:1136 th:TH_LOAD_LU
	s_wait_loadcnt_dscnt 0x101
	v_mul_f64_e32 v[68:69], v[76:77], v[14:15]
	v_mul_f64_e32 v[8:9], v[76:77], v[12:13]
	s_wait_loadcnt 0x0
	v_mul_f64_e32 v[32:33], v[178:179], v[30:31]
	v_mul_f64_e32 v[34:35], v[178:179], v[28:29]
	s_delay_alu instid0(VALU_DEP_4) | instskip(NEXT) | instid1(VALU_DEP_4)
	v_fma_f64 v[68:69], v[74:75], v[12:13], v[68:69]
	v_fma_f64 v[74:75], v[74:75], v[14:15], -v[8:9]
	ds_load_b128 v[8:11], v108 offset:22176
	ds_load_b128 v[12:15], v108 offset:23184
	s_clause 0x1
	scratch_load_b128 v[172:175], off, off offset:1120 th:TH_LOAD_LU
	scratch_load_b128 v[178:181], off, off offset:1184 th:TH_LOAD_LU
	v_fma_f64 v[78:79], v[176:177], v[28:29], v[32:33]
	v_fma_f64 v[109:110], v[176:177], v[30:31], -v[34:35]
	ds_load_b128 v[28:31], v108 offset:8064
	scratch_load_b128 v[182:185], off, off offset:1248 th:TH_LOAD_LU ; 16-byte Folded Reload
	v_add_f64_e64 v[196:197], v[68:69], -v[78:79]
	s_wait_loadcnt_dscnt 0x202
	v_mul_f64_e32 v[76:77], v[174:175], v[10:11]
	v_mul_f64_e32 v[32:33], v[174:175], v[8:9]
	scratch_load_b128 v[174:177], off, off offset:1152 th:TH_LOAD_LU ; 16-byte Folded Reload
	v_fma_f64 v[76:77], v[172:173], v[8:9], v[76:77]
	v_fma_f64 v[192:193], v[172:173], v[10:11], -v[32:33]
	ds_load_b128 v[8:11], v108 offset:9072
	s_wait_loadcnt_dscnt 0x201
	v_mul_f64_e32 v[32:33], v[180:181], v[30:31]
	v_mul_f64_e32 v[34:35], v[180:181], v[28:29]
	v_add_f64_e64 v[194:195], v[70:71], -v[76:77]
	s_delay_alu instid0(VALU_DEP_3) | instskip(NEXT) | instid1(VALU_DEP_3)
	v_fma_f64 v[208:209], v[178:179], v[28:29], v[32:33]
	v_fma_f64 v[210:211], v[178:179], v[30:31], -v[34:35]
	scratch_load_b128 v[178:181], off, off offset:1200 th:TH_LOAD_LU ; 16-byte Folded Reload
	ds_load_b128 v[28:31], v108 offset:18144
	s_wait_loadcnt 0x1
	v_mul_f64_e32 v[172:173], v[176:177], v[26:27]
	v_mul_f64_e32 v[32:33], v[176:177], v[24:25]
	s_delay_alu instid0(VALU_DEP_2) | instskip(NEXT) | instid1(VALU_DEP_2)
	v_fma_f64 v[212:213], v[174:175], v[24:25], v[172:173]
	v_fma_f64 v[214:215], v[174:175], v[26:27], -v[32:33]
	ds_load_b128 v[24:27], v108 offset:19152
	scratch_load_b128 v[174:177], off, off offset:1168 th:TH_LOAD_LU ; 16-byte Folded Reload
	s_wait_loadcnt_dscnt 0x101
	v_mul_f64_e32 v[32:33], v[180:181], v[30:31]
	v_mul_f64_e32 v[34:35], v[180:181], v[28:29]
	s_delay_alu instid0(VALU_DEP_2) | instskip(NEXT) | instid1(VALU_DEP_2)
	v_fma_f64 v[216:217], v[178:179], v[28:29], v[32:33]
	v_fma_f64 v[218:219], v[178:179], v[30:31], -v[34:35]
	scratch_load_b128 v[178:181], off, off offset:1232 th:TH_LOAD_LU ; 16-byte Folded Reload
	v_mul_f64_e32 v[30:31], v[184:185], v[10:11]
	v_mul_f64_e32 v[32:33], v[184:185], v[8:9]
	scratch_load_b128 v[184:187], off, off offset:1264 th:TH_LOAD_LU ; 16-byte Folded Reload
	v_fma_f64 v[224:225], v[182:183], v[8:9], v[30:31]
	v_fma_f64 v[226:227], v[182:183], v[10:11], -v[32:33]
	s_wait_loadcnt 0x2
	v_mul_f64_e32 v[28:29], v[176:177], v[12:13]
	v_mul_f64_e32 v[172:173], v[176:177], v[14:15]
	v_add_f64_e32 v[176:177], v[18:19], v[36:37]
	s_delay_alu instid0(VALU_DEP_3) | instskip(NEXT) | instid1(VALU_DEP_3)
	v_fma_f64 v[222:223], v[174:175], v[14:15], -v[28:29]
	v_fma_f64 v[220:221], v[174:175], v[12:13], v[172:173]
	ds_load_b128 v[8:11], v108 offset:24192
	ds_load_b128 v[12:15], v108
	s_wait_loadcnt 0x1
	v_mul_f64_e32 v[28:29], v[180:181], v[170:171]
	v_mul_f64_e32 v[34:35], v[180:181], v[168:169]
	s_wait_loadcnt_dscnt 0x2
	v_mul_f64_e32 v[172:173], v[186:187], v[26:27]
	v_mul_f64_e32 v[174:175], v[186:187], v[24:25]
	v_add_f64_e32 v[186:187], v[68:69], v[78:79]
	v_fma_f64 v[228:229], v[178:179], v[168:169], v[28:29]
	v_fma_f64 v[230:231], v[178:179], v[170:171], -v[34:35]
	scratch_load_b128 v[178:181], off, off offset:1216 th:TH_LOAD_LU ; 16-byte Folded Reload
	v_fma_f64 v[232:233], v[184:185], v[24:25], v[172:173]
	v_add_f64_e32 v[172:173], v[16:17], v[38:39]
	v_fma_f64 v[234:235], v[184:185], v[26:27], -v[174:175]
	v_add_f64_e64 v[168:169], v[42:43], -v[48:49]
	v_add_f64_e64 v[24:25], v[40:41], -v[18:19]
	;; [unrolled: 1-line block ×3, first 2 shown]
	s_wait_dscnt 0x0
	v_fma_f64 v[170:171], v[176:177], -0.5, v[12:13]
	v_add_f64_e64 v[176:177], v[18:19], -v[36:37]
	ds_load_b128 v[28:31], v108 offset:1008
	v_add_f64_e64 v[184:185], v[36:37], -v[46:47]
	s_wait_dscnt 0x0
	v_add_f64_e32 v[182:183], v[30:31], v[64:65]
	v_fma_f64 v[172:173], v[172:173], -0.5, v[14:15]
	v_add_f64_e32 v[174:175], v[24:25], v[26:27]
	v_fma_f64 v[24:25], v[168:169], s[2:3], v[170:171]
	s_wait_loadcnt 0x0
	v_mul_f64_e32 v[32:33], v[180:181], v[10:11]
	v_mul_f64_e32 v[34:35], v[180:181], v[8:9]
	v_add_f64_e32 v[180:181], v[28:29], v[58:59]
	s_delay_alu instid0(VALU_DEP_3) | instskip(NEXT) | instid1(VALU_DEP_3)
	v_fma_f64 v[236:237], v[178:179], v[8:9], v[32:33]
	v_fma_f64 v[238:239], v[178:179], v[10:11], -v[34:35]
	v_add_f64_e64 v[10:11], v[40:41], -v[46:47]
	v_add_f64_e64 v[32:33], v[42:43], -v[16:17]
	;; [unrolled: 1-line block ×4, first 2 shown]
	v_add_f64_e32 v[178:179], v[64:65], v[66:67]
	v_fma_f64 v[26:27], v[10:11], s[16:17], v[172:173]
	s_delay_alu instid0(VALU_DEP_4)
	v_add_f64_e32 v[34:35], v[32:33], v[34:35]
	v_fma_f64 v[32:33], v[168:169], s[16:17], v[170:171]
	v_fma_f64 v[170:171], v[10:11], s[2:3], v[172:173]
	v_add_f64_e32 v[172:173], v[42:43], v[48:49]
	v_fma_f64 v[24:25], v[8:9], s[10:11], v[24:25]
	v_fma_f64 v[178:179], v[178:179], -0.5, v[30:31]
	s_wait_alu 0xfffe
	v_fma_f64 v[26:27], v[176:177], s[14:15], v[26:27]
	v_fma_f64 v[32:33], v[8:9], s[14:15], v[32:33]
	;; [unrolled: 1-line block ×3, first 2 shown]
	v_fma_f64 v[172:173], v[172:173], -0.5, v[14:15]
	v_add_f64_e32 v[14:15], v[14:15], v[42:43]
	v_fma_f64 v[24:25], v[174:175], s[12:13], v[24:25]
	v_fma_f64 v[26:27], v[34:35], s[12:13], v[26:27]
	;; [unrolled: 1-line block ×4, first 2 shown]
	v_add_f64_e32 v[170:171], v[40:41], v[46:47]
	v_add_f64_e32 v[14:15], v[14:15], v[16:17]
	;; [unrolled: 1-line block ×3, first 2 shown]
	s_delay_alu instid0(VALU_DEP_3) | instskip(SKIP_4) | instid1(VALU_DEP_4)
	v_fma_f64 v[170:171], v[170:171], -0.5, v[12:13]
	v_add_f64_e32 v[12:13], v[12:13], v[40:41]
	v_add_f64_e64 v[40:41], v[18:19], -v[40:41]
	v_add_f64_e32 v[14:15], v[14:15], v[38:39]
	v_fma_f64 v[174:175], v[174:175], -0.5, v[30:31]
	v_add_f64_e32 v[12:13], v[12:13], v[18:19]
	v_add_f64_e64 v[18:19], v[16:17], -v[42:43]
	v_add_f64_e32 v[16:17], v[50:51], v[52:53]
	v_add_f64_e32 v[42:43], v[58:59], v[56:57]
	;; [unrolled: 1-line block ×3, first 2 shown]
	v_fma_f64 v[14:15], v[8:9], s[16:17], v[170:171]
	v_fma_f64 v[8:9], v[8:9], s[2:3], v[170:171]
	v_add_f64_e64 v[170:171], v[64:65], -v[44:45]
	v_add_f64_e32 v[40:41], v[40:41], v[184:185]
	v_add_f64_e64 v[184:185], v[72:73], -v[74:75]
	v_add_f64_e32 v[12:13], v[12:13], v[36:37]
	v_add_f64_e32 v[36:37], v[182:183], v[44:45]
	v_fma_f64 v[16:17], v[16:17], -0.5, v[28:29]
	v_fma_f64 v[42:43], v[42:43], -0.5, v[28:29]
	v_add_f64_e64 v[182:183], v[56:57], -v[52:53]
	v_fma_f64 v[14:15], v[168:169], s[10:11], v[14:15]
	v_fma_f64 v[8:9], v[168:169], s[14:15], v[8:9]
	v_add_f64_e32 v[28:29], v[12:13], v[46:47]
	v_add_f64_e64 v[12:13], v[38:39], -v[48:49]
	v_add_f64_e32 v[38:39], v[180:181], v[50:51]
	v_add_f64_e32 v[36:37], v[36:37], v[54:55]
	v_add_f64_e64 v[48:49], v[64:65], -v[66:67]
	v_add_f64_e64 v[64:65], v[44:45], -v[64:65]
	;; [unrolled: 1-line block ×5, first 2 shown]
	v_add_f64_e32 v[12:13], v[18:19], v[12:13]
	v_add_f64_e32 v[46:47], v[38:39], v[52:53]
	;; [unrolled: 1-line block ×3, first 2 shown]
	v_add_f64_e64 v[66:67], v[50:51], -v[58:59]
	v_add_f64_e32 v[64:65], v[64:65], v[54:55]
	v_fma_f64 v[54:55], v[48:49], s[2:3], v[16:17]
	v_fma_f64 v[16:17], v[48:49], s[16:17], v[16:17]
	v_add_f64_e32 v[36:37], v[46:47], v[56:57]
	v_add_f64_e64 v[46:47], v[58:59], -v[50:51]
	v_add_f64_e64 v[58:59], v[58:59], -v[56:57]
	;; [unrolled: 1-line block ×4, first 2 shown]
	v_fma_f64 v[52:53], v[176:177], s[16:17], v[172:173]
	v_fma_f64 v[54:55], v[44:45], s[10:11], v[54:55]
	;; [unrolled: 1-line block ×3, first 2 shown]
	v_add_f64_e32 v[18:19], v[46:47], v[182:183]
	v_fma_f64 v[46:47], v[176:177], s[2:3], v[172:173]
	v_fma_f64 v[168:169], v[58:59], s[16:17], v[174:175]
	v_add_f64_e32 v[56:57], v[66:67], v[56:57]
	v_add_f64_e32 v[66:67], v[170:171], v[180:181]
	v_fma_f64 v[170:171], v[58:59], s[2:3], v[174:175]
	v_fma_f64 v[172:173], v[50:51], s[16:17], v[178:179]
	v_add_f64_e64 v[180:181], v[70:71], -v[68:69]
	v_add_f64_e64 v[182:183], v[76:77], -v[78:79]
	v_fma_f64 v[46:47], v[10:11], s[14:15], v[46:47]
	v_fma_f64 v[10:11], v[10:11], s[10:11], v[52:53]
	;; [unrolled: 1-line block ×14, first 2 shown]
	v_add_f64_e32 v[18:19], v[74:75], v[109:110]
	v_fma_f64 v[45:46], v[12:13], s[12:13], v[46:47]
	v_fma_f64 v[47:48], v[40:41], s[12:13], v[8:9]
	;; [unrolled: 1-line block ×3, first 2 shown]
	ds_load_b128 v[8:11], v108 offset:2016
	v_fma_f64 v[43:44], v[40:41], s[12:13], v[14:15]
	ds_load_b128 v[12:15], v108 offset:3024
	v_add_f64_e64 v[40:41], v[192:193], -v[109:110]
	v_fma_f64 v[170:171], v[66:67], s[12:13], v[170:171]
	v_add_f64_e32 v[16:17], v[180:181], v[182:183]
	global_wb scope:SCOPE_SE
	s_wait_dscnt 0x0
	s_barrier_signal -1
	s_barrier_wait -1
	global_inv scope:SCOPE_SE
	v_fma_f64 v[172:173], v[56:57], s[12:13], v[174:175]
	v_fma_f64 v[174:175], v[64:65], s[12:13], v[176:177]
	;; [unrolled: 1-line block ×4, first 2 shown]
	v_add_f64_e64 v[55:56], v[72:73], -v[192:193]
	v_fma_f64 v[57:58], v[186:187], -0.5, v[8:9]
	v_fma_f64 v[18:19], v[18:19], -0.5, v[10:11]
	v_add_f64_e64 v[64:65], v[74:75], -v[109:110]
	v_add_f64_e32 v[40:41], v[184:185], v[40:41]
	s_delay_alu instid0(VALU_DEP_4) | instskip(NEXT) | instid1(VALU_DEP_4)
	v_fma_f64 v[66:67], v[55:56], s[2:3], v[57:58]
	v_fma_f64 v[180:181], v[194:195], s[16:17], v[18:19]
	;; [unrolled: 1-line block ×4, first 2 shown]
	s_delay_alu instid0(VALU_DEP_4) | instskip(NEXT) | instid1(VALU_DEP_4)
	v_fma_f64 v[66:67], v[64:65], s[10:11], v[66:67]
	v_fma_f64 v[182:183], v[196:197], s[14:15], v[180:181]
	s_delay_alu instid0(VALU_DEP_4) | instskip(NEXT) | instid1(VALU_DEP_4)
	v_fma_f64 v[57:58], v[64:65], s[14:15], v[57:58]
	v_fma_f64 v[18:19], v[196:197], s[10:11], v[18:19]
	;; [unrolled: 3-line block ×4, first 2 shown]
	v_add_f64_e32 v[16:17], v[70:71], v[76:77]
	v_add_f64_e32 v[18:19], v[72:73], v[192:193]
	v_add_f64_e64 v[40:41], v[68:69], -v[70:71]
	v_add_f64_e64 v[66:67], v[78:79], -v[76:77]
	s_delay_alu instid0(VALU_DEP_4) | instskip(NEXT) | instid1(VALU_DEP_4)
	v_fma_f64 v[16:17], v[16:17], -0.5, v[8:9]
	v_fma_f64 v[18:19], v[18:19], -0.5, v[10:11]
	v_add_f64_e32 v[8:9], v[8:9], v[70:71]
	v_add_f64_e32 v[10:11], v[10:11], v[72:73]
	;; [unrolled: 1-line block ×3, first 2 shown]
	v_add_f64_e64 v[66:67], v[210:211], -v[214:215]
	v_add_f64_e64 v[70:71], v[224:225], -v[236:237]
	v_fma_f64 v[57:58], v[64:65], s[16:17], v[16:17]
	v_fma_f64 v[16:17], v[64:65], s[2:3], v[16:17]
	v_add_f64_e32 v[8:9], v[8:9], v[68:69]
	v_add_f64_e32 v[10:11], v[10:11], v[74:75]
	v_add_f64_e64 v[64:65], v[74:75], -v[72:73]
	v_add_f64_e64 v[72:73], v[236:237], -v[232:233]
	v_fma_f64 v[57:58], v[55:56], s[10:11], v[57:58]
	v_fma_f64 v[16:17], v[55:56], s[14:15], v[16:17]
	v_add_f64_e32 v[8:9], v[8:9], v[78:79]
	v_add_f64_e32 v[10:11], v[10:11], v[109:110]
	v_add_f64_e64 v[55:56], v[208:209], -v[212:213]
	s_delay_alu instid0(VALU_DEP_3) | instskip(NEXT) | instid1(VALU_DEP_3)
	v_add_f64_e32 v[188:189], v[8:9], v[76:77]
	v_add_f64_e32 v[190:191], v[10:11], v[192:193]
	v_add_f64_e64 v[8:9], v[109:110], -v[192:193]
	v_fma_f64 v[10:11], v[196:197], s[2:3], v[18:19]
	v_fma_f64 v[18:19], v[196:197], s[16:17], v[18:19]
	;; [unrolled: 1-line block ×3, first 2 shown]
	v_add_f64_e64 v[57:58], v[208:209], -v[220:221]
	v_fma_f64 v[196:197], v[40:41], s[12:13], v[16:17]
	v_add_f64_e64 v[16:17], v[210:211], -v[222:223]
	v_add_f64_e32 v[8:9], v[64:65], v[8:9]
	v_fma_f64 v[10:11], v[194:195], s[14:15], v[10:11]
	v_fma_f64 v[18:19], v[194:195], s[10:11], v[18:19]
	v_add_f64_e64 v[64:65], v[220:221], -v[216:217]
	s_delay_alu instid0(VALU_DEP_3) | instskip(NEXT) | instid1(VALU_DEP_3)
	v_fma_f64 v[194:195], v[8:9], s[12:13], v[10:11]
	v_fma_f64 v[198:199], v[8:9], s[12:13], v[18:19]
	v_add_f64_e32 v[8:9], v[214:215], v[218:219]
	s_delay_alu instid0(VALU_DEP_4) | instskip(SKIP_4) | instid1(VALU_DEP_4)
	v_add_f64_e32 v[55:56], v[55:56], v[64:65]
	v_add_f64_e64 v[64:65], v[222:223], -v[218:219]
	v_add_f64_e32 v[10:11], v[212:213], v[216:217]
	v_add_f64_e64 v[18:19], v[214:215], -v[218:219]
	v_fma_f64 v[8:9], v[8:9], -0.5, v[14:15]
	v_add_f64_e32 v[64:65], v[66:67], v[64:65]
	s_delay_alu instid0(VALU_DEP_4) | instskip(SKIP_1) | instid1(VALU_DEP_4)
	v_fma_f64 v[10:11], v[10:11], -0.5, v[12:13]
	v_add_f64_e64 v[66:67], v[212:213], -v[216:217]
	v_fma_f64 v[68:69], v[57:58], s[16:17], v[8:9]
	v_fma_f64 v[8:9], v[57:58], s[2:3], v[8:9]
	s_delay_alu instid0(VALU_DEP_4) | instskip(SKIP_1) | instid1(VALU_DEP_4)
	v_fma_f64 v[40:41], v[16:17], s[2:3], v[10:11]
	v_fma_f64 v[10:11], v[16:17], s[16:17], v[10:11]
	;; [unrolled: 1-line block ×3, first 2 shown]
	s_delay_alu instid0(VALU_DEP_4) | instskip(NEXT) | instid1(VALU_DEP_4)
	v_fma_f64 v[8:9], v[66:67], s[10:11], v[8:9]
	v_fma_f64 v[40:41], v[18:19], s[10:11], v[40:41]
	s_delay_alu instid0(VALU_DEP_4) | instskip(NEXT) | instid1(VALU_DEP_4)
	v_fma_f64 v[10:11], v[18:19], s[14:15], v[10:11]
	v_fma_f64 v[202:203], v[64:65], s[12:13], v[68:69]
	s_delay_alu instid0(VALU_DEP_4)
	v_fma_f64 v[206:207], v[64:65], s[12:13], v[8:9]
	v_add_f64_e32 v[8:9], v[208:209], v[220:221]
	v_fma_f64 v[200:201], v[55:56], s[12:13], v[40:41]
	v_fma_f64 v[204:205], v[55:56], s[12:13], v[10:11]
	v_add_f64_e32 v[10:11], v[210:211], v[222:223]
	v_add_f64_e64 v[40:41], v[212:213], -v[208:209]
	v_add_f64_e64 v[68:69], v[224:225], -v[228:229]
	v_fma_f64 v[8:9], v[8:9], -0.5, v[12:13]
	v_add_f64_e32 v[12:13], v[12:13], v[208:209]
	v_fma_f64 v[10:11], v[10:11], -0.5, v[14:15]
	v_add_f64_e32 v[14:15], v[14:15], v[210:211]
	v_add_f64_e32 v[68:69], v[68:69], v[72:73]
	v_fma_f64 v[55:56], v[18:19], s[16:17], v[8:9]
	v_fma_f64 v[8:9], v[18:19], s[2:3], v[8:9]
	v_add_f64_e64 v[18:19], v[214:215], -v[210:211]
	v_fma_f64 v[64:65], v[66:67], s[2:3], v[10:11]
	v_add_f64_e32 v[14:15], v[14:15], v[214:215]
	v_fma_f64 v[10:11], v[66:67], s[16:17], v[10:11]
	v_add_f64_e32 v[12:13], v[12:13], v[212:213]
	v_add_f64_e64 v[66:67], v[216:217], -v[220:221]
	v_fma_f64 v[55:56], v[16:17], s[10:11], v[55:56]
	v_fma_f64 v[8:9], v[16:17], s[14:15], v[8:9]
	v_add_f64_e64 v[16:17], v[218:219], -v[222:223]
	v_add_f64_e32 v[14:15], v[14:15], v[218:219]
	v_fma_f64 v[10:11], v[57:58], s[10:11], v[10:11]
	v_add_f64_e32 v[12:13], v[12:13], v[216:217]
	v_add_f64_e32 v[40:41], v[40:41], v[66:67]
	v_add_f64_e64 v[66:67], v[228:229], -v[232:233]
	v_add_f64_e32 v[16:17], v[18:19], v[16:17]
	v_fma_f64 v[18:19], v[57:58], s[14:15], v[64:65]
	v_add_f64_e32 v[210:211], v[14:15], v[222:223]
	v_add_f64_e64 v[14:15], v[234:235], -v[238:239]
	v_add_f64_e32 v[208:209], v[12:13], v[220:221]
	v_add_f64_e64 v[12:13], v[228:229], -v[224:225]
	v_fma_f64 v[216:217], v[40:41], s[12:13], v[8:9]
	v_add_f64_e64 v[8:9], v[232:233], -v[236:237]
	v_fma_f64 v[212:213], v[40:41], s[12:13], v[55:56]
	v_add_f64_e64 v[40:41], v[230:231], -v[234:235]
	v_add_f64_e64 v[57:58], v[226:227], -v[238:239]
	v_fma_f64 v[218:219], v[16:17], s[12:13], v[10:11]
	v_add_f64_e64 v[10:11], v[230:231], -v[226:227]
	v_fma_f64 v[214:215], v[16:17], s[12:13], v[18:19]
	v_add_f64_e32 v[16:17], v[230:231], v[234:235]
	v_add_f64_e32 v[8:9], v[12:13], v[8:9]
	;; [unrolled: 1-line block ×6, first 2 shown]
	v_fma_f64 v[16:17], v[16:17], -0.5, v[22:23]
	v_fma_f64 v[12:13], v[12:13], -0.5, v[22:23]
	v_add_f64_e32 v[22:23], v[22:23], v[226:227]
	v_fma_f64 v[10:11], v[10:11], -0.5, v[20:21]
	v_fma_f64 v[14:15], v[14:15], -0.5, v[20:21]
	v_add_f64_e32 v[20:21], v[20:21], v[224:225]
	v_fma_f64 v[74:75], v[70:71], s[16:17], v[16:17]
	v_fma_f64 v[16:17], v[70:71], s[2:3], v[16:17]
	v_add_f64_e32 v[22:23], v[22:23], v[230:231]
	v_fma_f64 v[55:56], v[40:41], s[16:17], v[10:11]
	v_fma_f64 v[10:11], v[40:41], s[2:3], v[10:11]
	;; [unrolled: 3-line block ×4, first 2 shown]
	v_add_f64_e32 v[20:21], v[20:21], v[232:233]
	v_add_f64_e64 v[57:58], v[226:227], -v[230:231]
	v_fma_f64 v[64:65], v[40:41], s[10:11], v[64:65]
	v_fma_f64 v[40:41], v[40:41], s[14:15], v[14:15]
	v_add_f64_e32 v[222:223], v[22:23], v[238:239]
	v_fma_f64 v[22:23], v[66:67], s[2:3], v[12:13]
	v_fma_f64 v[12:13], v[66:67], s[16:17], v[12:13]
	v_add_f64_e32 v[220:221], v[20:21], v[236:237]
	v_add_f64_e64 v[20:21], v[238:239], -v[234:235]
	s_delay_alu instid0(VALU_DEP_4) | instskip(NEXT) | instid1(VALU_DEP_4)
	v_fma_f64 v[22:23], v[70:71], s[14:15], v[22:23]
	v_fma_f64 v[70:71], v[70:71], s[10:11], v[12:13]
	v_fma_f64 v[12:13], v[8:9], s[12:13], v[55:56]
	s_delay_alu instid0(VALU_DEP_4)
	v_add_f64_e32 v[57:58], v[57:58], v[20:21]
	v_fma_f64 v[20:21], v[66:67], s[14:15], v[74:75]
	v_fma_f64 v[66:67], v[66:67], s[10:11], v[16:17]
	;; [unrolled: 1-line block ×8, first 2 shown]
	scratch_load_b32 v40, off, off offset:1116 th:TH_LOAD_LU ; 4-byte Folded Reload
	v_fma_f64 v[22:23], v[57:58], s[12:13], v[66:67]
	s_wait_loadcnt 0x0
	ds_store_b128 v40, v[28:31]
	ds_store_b128 v40, v[24:27] offset:144
	ds_store_b128 v40, v[43:46] offset:288
	ds_store_b128 v40, v[47:50] offset:432
	ds_store_b128 v40, v[32:35] offset:576
	scratch_load_b32 v24, off, off offset:1112 th:TH_LOAD_LU ; 4-byte Folded Reload
	s_wait_loadcnt 0x0
	ds_store_b128 v24, v[36:39]
	ds_store_b128 v24, v[51:54] offset:144
	ds_store_b128 v24, v[172:175] offset:288
	ds_store_b128 v24, v[176:179] offset:432
	ds_store_b128 v24, v[168:171] offset:576
	scratch_load_b32 v24, off, off offset:1108 th:TH_LOAD_LU ; 4-byte Folded Reload
	;; [unrolled: 7-line block ×4, first 2 shown]
	s_wait_loadcnt 0x0
	ds_store_b128 v24, v[220:223]
	ds_store_b128 v24, v[8:11] offset:144
	ds_store_b128 v24, v[12:15] offset:288
	;; [unrolled: 1-line block ×4, first 2 shown]
	global_wb scope:SCOPE_SE
	s_wait_dscnt 0x0
	s_barrier_signal -1
	s_barrier_wait -1
	global_inv scope:SCOPE_SE
	ds_load_b128 v[24:27], v108
	ds_load_b128 v[28:31], v108 offset:1008
	ds_load_b128 v[208:211], v108 offset:7200
	;; [unrolled: 1-line block ×20, first 2 shown]
	s_and_saveexec_b32 s1, s0
	s_cbranch_execz .LBB0_27
; %bb.26:
	ds_load_b128 v[8:11], v108 offset:3024
	ds_load_b128 v[12:15], v108 offset:6624
	;; [unrolled: 1-line block ×7, first 2 shown]
	s_wait_dscnt 0x0
	scratch_store_b128 off, v[56:59], off offset:12 ; 16-byte Folded Spill
.LBB0_27:
	s_wait_alu 0xfffe
	s_or_b32 exec_lo, exec_lo, s1
	scratch_load_b128 v[66:69], off, off offset:1280 th:TH_LOAD_LU ; 16-byte Folded Reload
	s_wait_dscnt 0x2
	v_mul_f64_e32 v[76:77], v[146:147], v[198:199]
	v_mul_f64_e32 v[78:79], v[158:159], v[180:181]
	s_mov_b32 s10, 0x37e14327
	s_mov_b32 s2, 0x36b3c0b5
	;; [unrolled: 1-line block ×11, first 2 shown]
	s_wait_alu 0xfffe
	s_mov_b32 s18, s16
	s_mov_b32 s20, 0xb247c609
	;; [unrolled: 1-line block ×4, first 2 shown]
	s_wait_alu 0xfffe
	s_mov_b32 s22, s20
	s_mov_b32 s24, 0xaaaaaaaa
	;; [unrolled: 1-line block ×5, first 2 shown]
	s_delay_alu instid0(VALU_DEP_1) | instskip(SKIP_2) | instid1(VALU_DEP_1)
	v_fma_f64 v[78:79], v[156:157], v[182:183], -v[78:79]
	s_wait_loadcnt 0x0
	v_mul_f64_e32 v[56:57], v[68:69], v[214:215]
	v_fma_f64 v[64:65], v[66:67], v[212:213], v[56:57]
	v_mul_f64_e32 v[56:57], v[68:69], v[212:213]
	scratch_load_b128 v[68:71], off, off offset:1328 th:TH_LOAD_LU ; 16-byte Folded Reload
	v_fma_f64 v[66:67], v[66:67], v[214:215], -v[56:57]
	s_wait_loadcnt 0x0
	v_mul_f64_e32 v[56:57], v[70:71], v[210:211]
	s_delay_alu instid0(VALU_DEP_1) | instskip(SKIP_1) | instid1(VALU_DEP_1)
	v_fma_f64 v[72:73], v[68:69], v[208:209], v[56:57]
	v_mul_f64_e32 v[56:57], v[70:71], v[208:209]
	v_fma_f64 v[74:75], v[68:69], v[210:211], -v[56:57]
	scratch_load_b128 v[68:71], off, off offset:1360 th:TH_LOAD_LU ; 16-byte Folded Reload
	s_wait_loadcnt 0x0
	v_mul_f64_e32 v[56:57], v[70:71], v[218:219]
	s_delay_alu instid0(VALU_DEP_1) | instskip(SKIP_1) | instid1(VALU_DEP_1)
	v_fma_f64 v[109:110], v[68:69], v[216:217], v[56:57]
	v_mul_f64_e32 v[56:57], v[70:71], v[216:217]
	v_fma_f64 v[208:209], v[68:69], v[218:219], -v[56:57]
	v_mul_f64_e32 v[56:57], v[82:83], v[202:203]
	v_mul_f64_e32 v[68:69], v[142:143], v[190:191]
	s_delay_alu instid0(VALU_DEP_2) | instskip(SKIP_2) | instid1(VALU_DEP_2)
	v_fma_f64 v[210:211], v[80:81], v[200:201], v[56:57]
	v_mul_f64_e32 v[56:57], v[82:83], v[200:201]
	v_mul_f64_e32 v[82:83], v[162:163], v[176:177]
	v_fma_f64 v[200:201], v[80:81], v[202:203], -v[56:57]
	v_fma_f64 v[202:203], v[140:141], v[188:189], v[68:69]
	v_mul_f64_e32 v[68:69], v[142:143], v[188:189]
	v_fma_f64 v[142:143], v[144:145], v[196:197], v[76:77]
	v_mul_f64_e32 v[76:77], v[146:147], v[196:197]
	v_mul_f64_e32 v[56:57], v[94:95], v[206:207]
	;; [unrolled: 1-line block ×3, first 2 shown]
	v_fma_f64 v[82:83], v[160:161], v[178:179], -v[82:83]
	v_fma_f64 v[140:141], v[140:141], v[190:191], -v[68:69]
	v_mul_f64_e32 v[68:69], v[150:151], v[194:195]
	v_fma_f64 v[144:145], v[144:145], v[198:199], -v[76:77]
	v_fma_f64 v[58:59], v[92:93], v[204:205], v[56:57]
	v_mul_f64_e32 v[56:57], v[94:95], v[204:205]
	s_wait_dscnt 0x0
	v_mul_f64_e32 v[94:95], v[106:107], v[184:185]
	v_mul_f64_e32 v[76:77], v[158:159], v[182:183]
	v_fma_f64 v[80:81], v[160:161], v[176:177], v[80:81]
	scratch_load_b128 v[158:161], off, off offset:1344 th:TH_LOAD_LU ; 16-byte Folded Reload
	v_fma_f64 v[70:71], v[148:149], v[192:193], v[68:69]
	v_mul_f64_e32 v[68:69], v[150:151], v[192:193]
	v_fma_f64 v[56:57], v[92:93], v[206:207], -v[56:57]
	v_mul_f64_e32 v[92:93], v[106:107], v[186:187]
	v_fma_f64 v[76:77], v[156:157], v[180:181], v[76:77]
	s_delay_alu instid0(VALU_DEP_4)
	v_fma_f64 v[68:69], v[148:149], v[194:195], -v[68:69]
	scratch_load_b128 v[146:149], off, off offset:1296 th:TH_LOAD_LU ; 16-byte Folded Reload
	v_fma_f64 v[92:93], v[104:105], v[184:185], v[92:93]
	v_fma_f64 v[104:105], v[104:105], v[186:187], -v[94:95]
	v_mul_f64_e32 v[94:95], v[102:103], v[174:175]
	v_mul_f64_e32 v[102:103], v[102:103], v[172:173]
	v_add_f64_e32 v[150:151], v[56:57], v[68:69]
	v_add_f64_e64 v[56:57], v[56:57], -v[68:69]
	s_delay_alu instid0(VALU_DEP_4) | instskip(NEXT) | instid1(VALU_DEP_4)
	v_fma_f64 v[94:95], v[100:101], v[172:173], v[94:95]
	v_fma_f64 v[100:101], v[100:101], v[174:175], -v[102:103]
	s_wait_loadcnt 0x0
	v_mul_f64_e32 v[102:103], v[148:149], v[170:171]
	v_mul_f64_e32 v[106:107], v[148:149], v[168:169]
	;; [unrolled: 1-line block ×4, first 2 shown]
	s_delay_alu instid0(VALU_DEP_4) | instskip(NEXT) | instid1(VALU_DEP_4)
	v_fma_f64 v[102:103], v[146:147], v[168:169], v[102:103]
	v_fma_f64 v[106:107], v[146:147], v[170:171], -v[106:107]
	v_mul_f64_e32 v[146:147], v[90:91], v[54:55]
	v_mul_f64_e32 v[90:91], v[90:91], v[52:53]
	v_fma_f64 v[48:49], v[96:97], v[48:49], v[148:149]
	v_fma_f64 v[50:51], v[96:97], v[50:51], -v[98:99]
	v_mul_f64_e32 v[96:97], v[160:161], v[42:43]
	v_mul_f64_e32 v[98:99], v[160:161], v[40:41]
	v_add_f64_e32 v[160:161], v[82:83], v[100:101]
	v_add_f64_e64 v[82:83], v[82:83], -v[100:101]
	v_fma_f64 v[52:53], v[88:89], v[52:53], v[146:147]
	v_fma_f64 v[54:55], v[88:89], v[54:55], -v[90:91]
	v_mul_f64_e32 v[88:89], v[154:155], v[46:47]
	v_mul_f64_e32 v[90:91], v[154:155], v[44:45]
	scratch_load_b128 v[154:157], off, off offset:1312 th:TH_LOAD_LU ; 16-byte Folded Reload
	v_fma_f64 v[40:41], v[158:159], v[40:41], v[96:97]
	v_fma_f64 v[42:43], v[158:159], v[42:43], -v[98:99]
	v_add_f64_e32 v[96:97], v[72:73], v[109:110]
	v_add_f64_e32 v[98:99], v[74:75], v[208:209]
	;; [unrolled: 1-line block ×3, first 2 shown]
	v_add_f64_e64 v[72:73], v[72:73], -v[109:110]
	v_add_f64_e64 v[74:75], v[74:75], -v[208:209]
	;; [unrolled: 1-line block ×3, first 2 shown]
	global_wb scope:SCOPE_SE
	s_wait_loadcnt 0x0
	s_wait_storecnt 0x0
	s_barrier_signal -1
	s_barrier_wait -1
	global_inv scope:SCOPE_SE
	v_add_f64_e32 v[109:110], v[102:103], v[52:53]
	v_add_f64_e64 v[52:53], v[52:53], -v[102:103]
	v_fma_f64 v[44:45], v[152:153], v[44:45], v[88:89]
	v_fma_f64 v[46:47], v[152:153], v[46:47], -v[90:91]
	v_add_f64_e32 v[88:89], v[64:65], v[210:211]
	v_add_f64_e32 v[90:91], v[66:67], v[200:201]
	;; [unrolled: 1-line block ×4, first 2 shown]
	v_add_f64_e64 v[140:141], v[140:141], -v[144:145]
	v_add_f64_e64 v[54:55], v[54:55], -v[106:107]
	v_add_f64_e64 v[64:65], v[64:65], -v[210:211]
	v_add_f64_e64 v[66:67], v[66:67], -v[200:201]
	v_add_f64_e64 v[94:95], v[52:53], -v[72:73]
	v_add_f64_e32 v[106:107], v[48:49], v[44:45]
	v_add_f64_e32 v[162:163], v[50:51], v[46:47]
	;; [unrolled: 1-line block ×4, first 2 shown]
	v_add_f64_e64 v[44:45], v[44:45], -v[48:49]
	v_add_f64_e64 v[46:47], v[46:47], -v[50:51]
	v_add_f64_e32 v[172:173], v[152:153], v[150:151]
	v_add_f64_e64 v[68:69], v[90:91], -v[102:103]
	v_add_f64_e64 v[90:91], v[98:99], -v[90:91]
	v_add_f64_e32 v[144:145], v[109:110], v[144:145]
	v_add_f64_e32 v[168:169], v[102:103], v[168:169]
	v_add_f64_e64 v[102:103], v[102:103], -v[98:99]
	v_add_f64_e32 v[100:101], v[46:47], v[140:141]
	v_add_f64_e32 v[172:173], v[162:163], v[172:173]
	v_mul_f64_e32 v[68:69], s[10:11], v[68:69]
	v_add_f64_e32 v[24:25], v[24:25], v[144:145]
	v_add_f64_e32 v[26:27], v[26:27], v[168:169]
	s_delay_alu instid0(VALU_DEP_4) | instskip(SKIP_1) | instid1(VALU_DEP_3)
	v_add_f64_e32 v[30:31], v[30:31], v[172:173]
	s_wait_alu 0xfffe
	v_fma_f64 v[144:145], v[144:145], s[24:25], v[24:25]
	s_delay_alu instid0(VALU_DEP_3) | instskip(NEXT) | instid1(VALU_DEP_3)
	v_fma_f64 v[168:169], v[168:169], s[24:25], v[26:27]
	v_fma_f64 v[172:173], v[172:173], s[24:25], v[30:31]
	v_mul_f64_e32 v[146:147], v[156:157], v[38:39]
	v_mul_f64_e32 v[148:149], v[156:157], v[36:37]
	v_add_f64_e32 v[156:157], v[78:79], v[104:105]
	v_add_f64_e64 v[78:79], v[78:79], -v[104:105]
	s_delay_alu instid0(VALU_DEP_4)
	v_fma_f64 v[36:37], v[154:155], v[36:37], v[146:147]
	v_add_f64_e32 v[146:147], v[58:59], v[70:71]
	v_fma_f64 v[38:39], v[154:155], v[38:39], -v[148:149]
	v_add_f64_e32 v[148:149], v[202:203], v[142:143]
	v_add_f64_e32 v[154:155], v[76:77], v[92:93]
	v_add_f64_e64 v[142:143], v[202:203], -v[142:143]
	v_add_f64_e32 v[176:177], v[160:161], v[156:157]
	v_add_f64_e64 v[58:59], v[58:59], -v[70:71]
	v_add_f64_e64 v[70:71], v[88:89], -v[109:110]
	;; [unrolled: 1-line block ×4, first 2 shown]
	v_add_f64_e32 v[92:93], v[52:53], v[72:73]
	v_add_f64_e64 v[88:89], v[96:97], -v[88:89]
	v_add_f64_e64 v[72:73], v[72:73], -v[64:65]
	;; [unrolled: 1-line block ×4, first 2 shown]
	v_add_f64_e32 v[48:49], v[40:41], v[36:37]
	v_add_f64_e64 v[104:105], v[146:147], -v[106:107]
	v_add_f64_e32 v[50:51], v[42:43], v[38:39]
	v_add_f64_e32 v[170:171], v[148:149], v[146:147]
	;; [unrolled: 1-line block ×3, first 2 shown]
	v_add_f64_e64 v[38:39], v[38:39], -v[42:43]
	v_add_f64_e32 v[42:43], v[44:45], v[142:143]
	v_add_f64_e64 v[98:99], v[148:149], -v[146:147]
	v_add_f64_e64 v[146:147], v[152:153], -v[150:151]
	v_mul_f64_e32 v[70:71], s[10:11], v[70:71]
	v_add_f64_e64 v[36:37], v[36:37], -v[40:41]
	v_add_f64_e32 v[64:65], v[92:93], v[64:65]
	v_add_f64_e64 v[92:93], v[44:45], -v[142:143]
	v_add_f64_e64 v[142:143], v[142:143], -v[58:59]
	v_add_f64_e32 v[40:41], v[54:55], v[74:75]
	v_add_f64_e64 v[74:75], v[74:75], -v[66:67]
	v_add_f64_e64 v[44:45], v[58:59], -v[44:45]
	;; [unrolled: 1-line block ×3, first 2 shown]
	v_mul_f64_e32 v[96:97], s[14:15], v[96:97]
	v_add_f64_e32 v[176:177], v[50:51], v[176:177]
	v_add_f64_e32 v[170:171], v[106:107], v[170:171]
	;; [unrolled: 1-line block ×3, first 2 shown]
	v_add_f64_e64 v[106:107], v[106:107], -v[148:149]
	v_add_f64_e64 v[148:149], v[150:151], -v[162:163]
	;; [unrolled: 1-line block ×8, first 2 shown]
	v_mul_f64_e32 v[162:163], s[2:3], v[109:110]
	v_add_f64_e64 v[50:51], v[50:51], -v[160:161]
	v_mul_f64_e32 v[160:161], s[2:3], v[102:103]
	v_fma_f64 v[109:110], v[109:110], s[2:3], v[70:71]
	v_fma_f64 v[70:71], v[88:89], s[18:19], -v[70:71]
	v_mul_f64_e32 v[92:93], s[14:15], v[92:93]
	v_add_f64_e32 v[40:41], v[40:41], v[66:67]
	v_mul_f64_e32 v[66:67], s[14:15], v[94:95]
	v_add_f64_e64 v[94:95], v[46:47], -v[140:141]
	v_add_f64_e64 v[46:47], v[56:57], -v[46:47]
	;; [unrolled: 1-line block ×3, first 2 shown]
	v_add_f64_e32 v[42:43], v[42:43], v[58:59]
	v_mul_f64_e32 v[58:59], s[12:13], v[72:73]
	v_add_f64_e32 v[56:57], v[100:101], v[56:57]
	v_mul_f64_e32 v[100:101], s[12:13], v[74:75]
	v_add_f64_e32 v[34:35], v[34:35], v[176:177]
	v_add_f64_e32 v[28:29], v[28:29], v[170:171]
	;; [unrolled: 1-line block ×3, first 2 shown]
	v_mul_f64_e32 v[154:155], s[10:11], v[154:155]
	v_mul_f64_e32 v[156:157], s[10:11], v[156:157]
	v_fma_f64 v[162:163], v[88:89], s[16:17], -v[162:163]
	v_fma_f64 v[88:89], v[102:103], s[2:3], v[68:69]
	v_fma_f64 v[102:103], v[90:91], s[16:17], -v[160:161]
	v_fma_f64 v[68:69], v[90:91], s[18:19], -v[68:69]
	v_mul_f64_e32 v[90:91], s[10:11], v[104:105]
	v_mul_f64_e32 v[104:105], s[2:3], v[106:107]
	;; [unrolled: 1-line block ×3, first 2 shown]
	v_fma_f64 v[72:73], v[72:73], s[12:13], -v[66:67]
	v_fma_f64 v[66:67], v[52:53], s[20:21], v[66:67]
	v_mul_f64_e32 v[94:95], s[14:15], v[94:95]
	v_add_f64_e32 v[70:71], v[70:71], v[144:145]
	v_fma_f64 v[52:53], v[52:53], s[22:23], -v[58:59]
	v_fma_f64 v[58:59], v[74:75], s[12:13], -v[96:97]
	v_fma_f64 v[74:75], v[54:55], s[20:21], v[96:97]
	v_fma_f64 v[54:55], v[54:55], s[22:23], -v[100:101]
	v_mul_f64_e32 v[96:97], s[12:13], v[140:141]
	v_mul_f64_e32 v[100:101], s[10:11], v[148:149]
	;; [unrolled: 1-line block ×3, first 2 shown]
	v_fma_f64 v[176:177], v[176:177], s[24:25], v[34:35]
	v_fma_f64 v[170:171], v[170:171], s[24:25], v[28:29]
	;; [unrolled: 1-line block ×3, first 2 shown]
	v_add_f64_e32 v[88:89], v[88:89], v[168:169]
	v_add_f64_e32 v[102:103], v[102:103], v[168:169]
	v_add_f64_e32 v[68:69], v[68:69], v[168:169]
	v_fma_f64 v[106:107], v[106:107], s[2:3], v[90:91]
	v_fma_f64 v[104:105], v[98:99], s[16:17], -v[104:105]
	v_fma_f64 v[90:91], v[98:99], s[18:19], -v[90:91]
	;; [unrolled: 1-line block ×3, first 2 shown]
	v_fma_f64 v[92:93], v[44:45], s[20:21], v[92:93]
	v_fma_f64 v[44:45], v[44:45], s[22:23], -v[160:161]
	v_add_f64_e64 v[142:143], v[36:37], -v[80:81]
	v_add_f64_e32 v[160:161], v[36:37], v[80:81]
	v_add_f64_e64 v[80:81], v[80:81], -v[76:77]
	v_add_f64_e64 v[36:37], v[76:77], -v[36:37]
	v_fma_f64 v[140:141], v[140:141], s[12:13], -v[94:95]
	v_fma_f64 v[94:95], v[46:47], s[20:21], v[94:95]
	v_fma_f64 v[46:47], v[46:47], s[22:23], -v[96:97]
	v_fma_f64 v[96:97], v[150:151], s[2:3], v[100:101]
	v_fma_f64 v[148:149], v[146:147], s[16:17], -v[148:149]
	v_fma_f64 v[100:101], v[146:147], s[18:19], -v[100:101]
	v_fma_f64 v[66:67], v[64:65], s[26:27], v[66:67]
	v_fma_f64 v[72:73], v[64:65], s[26:27], v[72:73]
	;; [unrolled: 1-line block ×4, first 2 shown]
	v_add_f64_e32 v[58:59], v[109:110], v[144:145]
	v_add_f64_e32 v[109:110], v[162:163], v[144:145]
	v_add_f64_e64 v[146:147], v[38:39], -v[82:83]
	v_add_f64_e32 v[150:151], v[38:39], v[82:83]
	v_add_f64_e64 v[82:83], v[82:83], -v[78:79]
	v_add_f64_e64 v[38:39], v[78:79], -v[38:39]
	v_fma_f64 v[74:75], v[40:41], s[26:27], v[74:75]
	v_fma_f64 v[54:55], v[40:41], s[26:27], v[54:55]
	v_add_f64_e32 v[106:107], v[106:107], v[170:171]
	v_add_f64_e32 v[104:105], v[104:105], v[170:171]
	;; [unrolled: 1-line block ×3, first 2 shown]
	v_fma_f64 v[98:99], v[42:43], s[26:27], v[98:99]
	v_fma_f64 v[92:93], v[42:43], s[26:27], v[92:93]
	;; [unrolled: 1-line block ×3, first 2 shown]
	v_mul_f64_e32 v[142:143], s[14:15], v[142:143]
	v_add_f64_e32 v[76:77], v[160:161], v[76:77]
	v_mul_f64_e32 v[160:161], s[12:13], v[80:81]
	v_fma_f64 v[140:141], v[56:57], s[26:27], v[140:141]
	v_fma_f64 v[94:95], v[56:57], s[26:27], v[94:95]
	v_add_f64_e32 v[96:97], v[96:97], v[172:173]
	v_add_f64_e32 v[148:149], v[148:149], v[172:173]
	;; [unrolled: 1-line block ×3, first 2 shown]
	v_add_f64_e64 v[42:43], v[68:69], -v[64:65]
	v_add_f64_e64 v[44:45], v[109:110], -v[52:53]
	v_mul_f64_e32 v[146:147], s[14:15], v[146:147]
	v_add_f64_e32 v[78:79], v[150:151], v[78:79]
	v_mul_f64_e32 v[150:151], s[12:13], v[82:83]
	v_add_f64_e32 v[40:41], v[54:55], v[70:71]
	v_fma_f64 v[80:81], v[80:81], s[12:13], -v[142:143]
	v_fma_f64 v[142:143], v[36:37], s[20:21], v[142:143]
	v_fma_f64 v[36:37], v[36:37], s[22:23], -v[160:161]
	v_mul_f64_e32 v[160:161], s[2:3], v[48:49]
	v_fma_f64 v[48:49], v[48:49], s[2:3], v[154:155]
	v_fma_f64 v[82:83], v[82:83], s[12:13], -v[146:147]
	v_fma_f64 v[146:147], v[38:39], s[20:21], v[146:147]
	v_fma_f64 v[38:39], v[38:39], s[22:23], -v[150:151]
	v_mul_f64_e32 v[150:151], s[2:3], v[50:51]
	v_fma_f64 v[50:51], v[50:51], s[2:3], v[156:157]
	v_fma_f64 v[168:169], v[76:77], s[26:27], v[36:37]
	v_add_f64_e32 v[36:37], v[74:75], v[58:59]
	v_add_f64_e32 v[172:173], v[48:49], v[174:175]
	;; [unrolled: 1-line block ×3, first 2 shown]
	scratch_load_b32 v109, off, off offset:1384 th:TH_LOAD_LU ; 4-byte Folded Reload
	v_fma_f64 v[160:161], v[152:153], s[16:17], -v[160:161]
	v_fma_f64 v[152:153], v[152:153], s[18:19], -v[154:155]
	;; [unrolled: 1-line block ×3, first 2 shown]
	v_fma_f64 v[156:157], v[56:57], s[26:27], v[46:47]
	v_add_f64_e32 v[46:47], v[72:73], v[102:103]
	v_add_f64_e64 v[52:53], v[70:71], -v[54:55]
	v_add_f64_e32 v[54:55], v[64:65], v[68:69]
	v_add_f64_e64 v[56:57], v[58:59], -v[74:75]
	v_add_f64_e32 v[58:59], v[66:67], v[88:89]
	v_add_f64_e32 v[64:65], v[94:95], v[106:107]
	v_add_f64_e64 v[70:71], v[100:101], -v[144:145]
	v_fma_f64 v[170:171], v[78:79], s[26:27], v[38:39]
	v_add_f64_e64 v[38:39], v[88:89], -v[66:67]
	v_add_f64_e32 v[178:179], v[50:51], v[176:177]
	v_add_f64_e64 v[50:51], v[102:103], -v[72:73]
	v_add_f64_e64 v[66:67], v[96:97], -v[92:93]
	;; [unrolled: 1-line block ×3, first 2 shown]
	v_add_f64_e32 v[74:75], v[98:99], v[148:149]
	v_fma_f64 v[150:151], v[158:159], s[16:17], -v[150:151]
	v_fma_f64 v[158:159], v[76:77], s[26:27], v[142:143]
	v_fma_f64 v[146:147], v[78:79], s[26:27], v[146:147]
	;; [unrolled: 1-line block ×4, first 2 shown]
	v_add_f64_e32 v[76:77], v[140:141], v[104:105]
	v_add_f64_e64 v[78:79], v[148:149], -v[98:99]
	v_add_f64_e32 v[82:83], v[144:145], v[100:101]
	v_add_f64_e64 v[88:89], v[106:107], -v[94:95]
	s_wait_loadcnt 0x0
	ds_store_b128 v109, v[24:27]
	ds_store_b128 v109, v[36:39] offset:720
	ds_store_b128 v109, v[40:43] offset:1440
	;; [unrolled: 1-line block ×6, first 2 shown]
	scratch_load_b32 v24, off, off offset:1380 th:TH_LOAD_LU ; 4-byte Folded Reload
	v_add_f64_e32 v[68:69], v[156:157], v[90:91]
	v_add_f64_e64 v[80:81], v[90:91], -v[156:157]
	v_add_f64_e32 v[90:91], v[92:93], v[96:97]
	v_add_f64_e32 v[152:153], v[152:153], v[174:175]
	;; [unrolled: 1-line block ×6, first 2 shown]
	v_add_f64_e64 v[94:95], v[178:179], -v[158:159]
	v_add_f64_e64 v[144:145], v[172:173], -v[146:147]
	v_add_f64_e32 v[146:147], v[158:159], v[178:179]
	s_wait_loadcnt 0x0
	ds_store_b128 v24, v[28:31]
	ds_store_b128 v24, v[64:67] offset:720
	ds_store_b128 v24, v[68:71] offset:1440
	;; [unrolled: 1-line block ×6, first 2 shown]
	scratch_load_b32 v24, off, off offset:1376 th:TH_LOAD_LU ; 4-byte Folded Reload
	v_add_f64_e32 v[96:97], v[170:171], v[152:153]
	v_add_f64_e64 v[98:99], v[154:155], -v[168:169]
	v_add_f64_e64 v[100:101], v[160:161], -v[162:163]
	v_add_f64_e32 v[102:103], v[142:143], v[150:151]
	v_add_f64_e32 v[104:105], v[162:163], v[160:161]
	v_add_f64_e64 v[106:107], v[150:151], -v[142:143]
	v_add_f64_e64 v[140:141], v[152:153], -v[170:171]
	v_add_f64_e32 v[142:143], v[168:169], v[154:155]
	s_wait_loadcnt 0x0
	ds_store_b128 v24, v[32:35]
	ds_store_b128 v24, v[92:95] offset:720
	ds_store_b128 v24, v[96:99] offset:1440
	;; [unrolled: 1-line block ×6, first 2 shown]
	s_and_saveexec_b32 s1, s0
	s_cbranch_execz .LBB0_29
; %bb.28:
	s_clause 0x5
	scratch_load_b128 v[64:67], off, off offset:1444 th:TH_LOAD_LU
	scratch_load_b128 v[74:77], off, off offset:12 th:TH_LOAD_LU
	;; [unrolled: 1-line block ×6, first 2 shown]
	s_wait_loadcnt 0x4
	v_mul_f64_e32 v[24:25], v[66:67], v[74:75]
	v_mul_f64_e32 v[34:35], v[66:67], v[76:77]
	scratch_load_b128 v[66:69], off, off offset:1460 th:TH_LOAD_LU ; 16-byte Folded Reload
	s_wait_loadcnt 0x4
	v_mul_f64_e32 v[26:27], v[50:51], v[12:13]
	s_wait_loadcnt 0x2
	v_mul_f64_e32 v[28:29], v[58:59], v[4:5]
	v_mul_f64_e32 v[30:31], v[54:55], v[16:17]
	;; [unrolled: 1-line block ×5, first 2 shown]
	s_wait_loadcnt 0x1
	v_mul_f64_e32 v[40:41], v[72:73], v[2:3]
	v_mul_f64_e32 v[46:47], v[72:73], v[0:1]
	v_fma_f64 v[24:25], v[64:65], v[76:77], -v[24:25]
	v_fma_f64 v[14:15], v[48:49], v[14:15], -v[26:27]
	;; [unrolled: 1-line block ×4, first 2 shown]
	v_fma_f64 v[12:13], v[48:49], v[12:13], v[32:33]
	v_fma_f64 v[26:27], v[64:65], v[74:75], v[34:35]
	;; [unrolled: 1-line block ×5, first 2 shown]
	v_fma_f64 v[2:3], v[70:71], v[2:3], -v[46:47]
	v_add_f64_e32 v[28:29], v[14:15], v[24:25]
	v_add_f64_e64 v[14:15], v[14:15], -v[24:25]
	v_add_f64_e32 v[30:31], v[18:19], v[6:7]
	v_add_f64_e64 v[6:7], v[18:19], -v[6:7]
	;; [unrolled: 2-line block ×4, first 2 shown]
	s_delay_alu instid0(VALU_DEP_2) | instskip(NEXT) | instid1(VALU_DEP_2)
	v_add_f64_e32 v[18:19], v[34:35], v[32:33]
	v_add_f64_e64 v[38:39], v[4:5], -v[12:13]
	s_wait_loadcnt 0x0
	v_mul_f64_e32 v[42:43], v[68:69], v[22:23]
	v_mul_f64_e32 v[44:45], v[68:69], v[20:21]
	s_delay_alu instid0(VALU_DEP_2) | instskip(NEXT) | instid1(VALU_DEP_2)
	v_fma_f64 v[20:21], v[66:67], v[20:21], v[42:43]
	v_fma_f64 v[22:23], v[66:67], v[22:23], -v[44:45]
	v_add_f64_e64 v[42:43], v[6:7], -v[14:15]
	s_delay_alu instid0(VALU_DEP_3) | instskip(NEXT) | instid1(VALU_DEP_3)
	v_add_f64_e64 v[36:37], v[0:1], -v[20:21]
	v_add_f64_e32 v[16:17], v[22:23], v[2:3]
	v_add_f64_e32 v[0:1], v[20:21], v[0:1]
	v_add_f64_e32 v[20:21], v[30:31], v[28:29]
	v_add_f64_e64 v[2:3], v[2:3], -v[22:23]
	v_add_f64_e64 v[22:23], v[36:37], -v[4:5]
	;; [unrolled: 1-line block ×4, first 2 shown]
	v_add_f64_e32 v[20:21], v[16:17], v[20:21]
	v_add_f64_e64 v[16:17], v[16:17], -v[30:31]
	v_add_f64_e64 v[40:41], v[2:3], -v[6:7]
	v_add_f64_e32 v[18:19], v[0:1], v[18:19]
	v_add_f64_e64 v[44:45], v[0:1], -v[34:35]
	v_add_f64_e64 v[46:47], v[12:13], -v[36:37]
	v_add_f64_e32 v[4:5], v[36:37], v[4:5]
	v_add_f64_e32 v[6:7], v[2:3], v[6:7]
	v_mul_f64_e32 v[36:37], s[12:13], v[38:39]
	v_add_f64_e64 v[48:49], v[14:15], -v[2:3]
	v_mul_f64_e32 v[22:23], s[14:15], v[22:23]
	v_mul_f64_e32 v[24:25], s[10:11], v[24:25]
	v_mul_f64_e32 v[26:27], s[10:11], v[26:27]
	v_add_f64_e32 v[2:3], v[10:11], v[20:21]
	v_add_f64_e64 v[10:11], v[30:31], -v[28:29]
	v_mul_f64_e32 v[28:29], s[2:3], v[16:17]
	v_mul_f64_e32 v[30:31], s[14:15], v[40:41]
	v_add_f64_e32 v[0:1], v[8:9], v[18:19]
	v_add_f64_e64 v[8:9], v[34:35], -v[32:33]
	v_mul_f64_e32 v[32:33], s[2:3], v[44:45]
	v_add_f64_e32 v[4:5], v[4:5], v[12:13]
	v_add_f64_e32 v[6:7], v[6:7], v[14:15]
	v_fma_f64 v[34:35], v[46:47], s[22:23], -v[36:37]
	v_mul_f64_e32 v[40:41], s[12:13], v[42:43]
	v_fma_f64 v[12:13], v[46:47], s[20:21], v[22:23]
	v_fma_f64 v[14:15], v[16:17], s[2:3], v[24:25]
	;; [unrolled: 1-line block ×3, first 2 shown]
	v_fma_f64 v[22:23], v[38:39], s[12:13], -v[22:23]
	v_fma_f64 v[20:21], v[20:21], s[24:25], v[2:3]
	v_fma_f64 v[24:25], v[10:11], s[18:19], -v[24:25]
	v_fma_f64 v[10:11], v[10:11], s[16:17], -v[28:29]
	v_fma_f64 v[28:29], v[48:49], s[20:21], v[30:31]
	v_fma_f64 v[18:19], v[18:19], s[24:25], v[0:1]
	v_fma_f64 v[26:27], v[8:9], s[18:19], -v[26:27]
	v_fma_f64 v[8:9], v[8:9], s[16:17], -v[32:33]
	;; [unrolled: 1-line block ×3, first 2 shown]
	v_fma_f64 v[32:33], v[4:5], s[26:27], v[34:35]
	v_fma_f64 v[36:37], v[48:49], s[22:23], -v[40:41]
	v_fma_f64 v[12:13], v[4:5], s[26:27], v[12:13]
	v_fma_f64 v[4:5], v[4:5], s[26:27], v[22:23]
	v_add_f64_e32 v[34:35], v[14:15], v[20:21]
	v_add_f64_e32 v[22:23], v[24:25], v[20:21]
	;; [unrolled: 1-line block ×3, first 2 shown]
	v_fma_f64 v[28:29], v[6:7], s[26:27], v[28:29]
	v_add_f64_e32 v[38:39], v[16:17], v[18:19]
	v_add_f64_e32 v[40:41], v[26:27], v[18:19]
	;; [unrolled: 1-line block ×3, first 2 shown]
	v_fma_f64 v[30:31], v[6:7], s[26:27], v[30:31]
	v_fma_f64 v[36:37], v[6:7], s[26:27], v[36:37]
	v_add_f64_e64 v[26:27], v[34:35], -v[12:13]
	v_add_f64_e32 v[10:11], v[32:33], v[22:23]
	v_add_f64_e64 v[14:15], v[20:21], -v[4:5]
	v_add_f64_e32 v[18:19], v[4:5], v[20:21]
	v_add_f64_e32 v[24:25], v[28:29], v[38:39]
	v_add_f64_e64 v[4:5], v[38:39], -v[28:29]
	scratch_load_b32 v28, off, off offset:612 th:TH_LOAD_LU ; 4-byte Folded Reload
	v_add_f64_e64 v[22:23], v[22:23], -v[32:33]
	v_add_f64_e64 v[16:17], v[8:9], -v[30:31]
	v_add_f64_e32 v[20:21], v[36:37], v[40:41]
	v_add_f64_e32 v[6:7], v[12:13], v[34:35]
	;; [unrolled: 1-line block ×3, first 2 shown]
	v_add_f64_e64 v[8:9], v[40:41], -v[36:37]
	s_wait_loadcnt 0x0
	v_lshlrev_b32_e32 v28, 4, v28
	ds_store_b128 v28, v[0:3] offset:20160
	ds_store_b128 v28, v[24:27] offset:20880
	;; [unrolled: 1-line block ×7, first 2 shown]
.LBB0_29:
	s_wait_alu 0xfffe
	s_or_b32 exec_lo, exec_lo, s1
	global_wb scope:SCOPE_SE
	s_wait_dscnt 0x0
	s_barrier_signal -1
	s_barrier_wait -1
	global_inv scope:SCOPE_SE
	ds_load_b128 v[4:7], v108 offset:10080
	ds_load_b128 v[0:3], v108 offset:11088
	s_mov_b32 s10, 0x134454ff
	s_mov_b32 s11, 0xbfee6f0e
	;; [unrolled: 1-line block ×3, first 2 shown]
	s_wait_alu 0xfffe
	s_mov_b32 s12, s10
	s_mov_b32 s0, 0x4755a5e
	;; [unrolled: 1-line block ×4, first 2 shown]
	s_wait_alu 0xfffe
	s_mov_b32 s2, s0
	s_mov_b32 s14, 0x372fe950
	;; [unrolled: 1-line block ×3, first 2 shown]
	s_wait_dscnt 0x1
	v_mul_f64_e32 v[8:9], v[62:63], v[6:7]
	s_delay_alu instid0(VALU_DEP_1) | instskip(SKIP_1) | instid1(VALU_DEP_1)
	v_fma_f64 v[12:13], v[60:61], v[4:5], v[8:9]
	v_mul_f64_e32 v[4:5], v[62:63], v[4:5]
	v_fma_f64 v[14:15], v[60:61], v[6:7], -v[4:5]
	ds_load_b128 v[8:11], v108 offset:15120
	ds_load_b128 v[4:7], v108 offset:14112
	s_wait_dscnt 0x1
	v_mul_f64_e32 v[16:17], v[86:87], v[10:11]
	s_delay_alu instid0(VALU_DEP_1) | instskip(SKIP_1) | instid1(VALU_DEP_1)
	v_fma_f64 v[18:19], v[84:85], v[8:9], v[16:17]
	v_mul_f64_e32 v[8:9], v[86:87], v[8:9]
	v_fma_f64 v[16:17], v[84:85], v[10:11], -v[8:9]
	ds_load_b128 v[8:11], v108 offset:5040
	ds_load_b128 v[20:23], v108 offset:4032
	scratch_load_b128 v[26:29], off, off offset:636 th:TH_LOAD_LU ; 16-byte Folded Reload
	s_wait_loadcnt_dscnt 0x1
	v_mul_f64_e32 v[24:25], v[28:29], v[10:11]
	s_delay_alu instid0(VALU_DEP_1) | instskip(SKIP_1) | instid1(VALU_DEP_1)
	v_fma_f64 v[32:33], v[26:27], v[8:9], v[24:25]
	v_mul_f64_e32 v[8:9], v[28:29], v[8:9]
	v_fma_f64 v[34:35], v[26:27], v[10:11], -v[8:9]
	ds_load_b128 v[8:11], v108 offset:20160
	ds_load_b128 v[24:27], v108 offset:21168
	scratch_load_b128 v[38:41], off, off offset:780 th:TH_LOAD_LU ; 16-byte Folded Reload
	s_wait_loadcnt_dscnt 0x1
	v_mul_f64_e32 v[28:29], v[40:41], v[10:11]
	s_delay_alu instid0(VALU_DEP_1) | instskip(SKIP_1) | instid1(VALU_DEP_2)
	v_fma_f64 v[36:37], v[38:39], v[8:9], v[28:29]
	v_mul_f64_e32 v[8:9], v[40:41], v[8:9]
	v_add_f64_e64 v[109:110], v[32:33], -v[36:37]
	s_delay_alu instid0(VALU_DEP_2)
	v_fma_f64 v[38:39], v[38:39], v[10:11], -v[8:9]
	ds_load_b128 v[8:11], v108 offset:6048
	ds_load_b128 v[28:31], v108 offset:7056
	s_clause 0x1
	scratch_load_b128 v[42:45], off, off offset:704 th:TH_LOAD_LU
	scratch_load_b128 v[46:49], off, off offset:756 th:TH_LOAD_LU
	s_wait_loadcnt_dscnt 0x101
	v_mul_f64_e32 v[40:41], v[44:45], v[10:11]
	s_delay_alu instid0(VALU_DEP_1) | instskip(SKIP_1) | instid1(VALU_DEP_1)
	v_fma_f64 v[40:41], v[42:43], v[8:9], v[40:41]
	v_mul_f64_e32 v[8:9], v[44:45], v[8:9]
	v_fma_f64 v[42:43], v[42:43], v[10:11], -v[8:9]
	s_wait_loadcnt 0x0
	v_mul_f64_e32 v[8:9], v[48:49], v[2:3]
	s_delay_alu instid0(VALU_DEP_1) | instskip(SKIP_1) | instid1(VALU_DEP_1)
	v_fma_f64 v[44:45], v[46:47], v[0:1], v[8:9]
	v_mul_f64_e32 v[0:1], v[48:49], v[0:1]
	v_fma_f64 v[46:47], v[46:47], v[2:3], -v[0:1]
	ds_load_b128 v[0:3], v108 offset:16128
	ds_load_b128 v[8:11], v108 offset:17136
	s_clause 0x1
	scratch_load_b128 v[50:53], off, off offset:740 th:TH_LOAD_LU
	scratch_load_b128 v[54:57], off, off offset:724 th:TH_LOAD_LU
	s_wait_loadcnt_dscnt 0x101
	v_mul_f64_e32 v[48:49], v[52:53], v[2:3]
	s_delay_alu instid0(VALU_DEP_1) | instskip(SKIP_1) | instid1(VALU_DEP_1)
	v_fma_f64 v[48:49], v[50:51], v[0:1], v[48:49]
	v_mul_f64_e32 v[0:1], v[52:53], v[0:1]
	v_fma_f64 v[50:51], v[50:51], v[2:3], -v[0:1]
	s_wait_loadcnt 0x0
	v_mul_f64_e32 v[0:1], v[56:57], v[26:27]
	s_delay_alu instid0(VALU_DEP_1) | instskip(SKIP_1) | instid1(VALU_DEP_1)
	v_fma_f64 v[52:53], v[54:55], v[24:25], v[0:1]
	v_mul_f64_e32 v[0:1], v[56:57], v[24:25]
	v_fma_f64 v[54:55], v[54:55], v[26:27], -v[0:1]
	scratch_load_b128 v[24:27], off, off offset:684 th:TH_LOAD_LU ; 16-byte Folded Reload
	s_wait_loadcnt 0x0
	v_mul_f64_e32 v[0:1], v[26:27], v[30:31]
	s_delay_alu instid0(VALU_DEP_1) | instskip(SKIP_1) | instid1(VALU_DEP_1)
	v_fma_f64 v[60:61], v[24:25], v[28:29], v[0:1]
	v_mul_f64_e32 v[0:1], v[26:27], v[28:29]
	v_fma_f64 v[62:63], v[24:25], v[30:31], -v[0:1]
	ds_load_b128 v[0:3], v108 offset:12096
	ds_load_b128 v[24:27], v108 offset:13104
	scratch_load_b128 v[56:59], off, off offset:668 th:TH_LOAD_LU ; 16-byte Folded Reload
	s_wait_loadcnt_dscnt 0x1
	v_mul_f64_e32 v[28:29], v[58:59], v[2:3]
	s_delay_alu instid0(VALU_DEP_1) | instskip(SKIP_2) | instid1(VALU_DEP_1)
	v_fma_f64 v[64:65], v[56:57], v[0:1], v[28:29]
	scratch_load_b128 v[28:31], off, off offset:812 th:TH_LOAD_LU ; 16-byte Folded Reload
	v_mul_f64_e32 v[0:1], v[58:59], v[0:1]
	v_fma_f64 v[66:67], v[56:57], v[2:3], -v[0:1]
	s_wait_loadcnt 0x0
	v_mul_f64_e32 v[0:1], v[30:31], v[10:11]
	s_delay_alu instid0(VALU_DEP_1) | instskip(SKIP_1) | instid1(VALU_DEP_1)
	v_fma_f64 v[68:69], v[28:29], v[8:9], v[0:1]
	v_mul_f64_e32 v[0:1], v[30:31], v[8:9]
	v_fma_f64 v[70:71], v[28:29], v[10:11], -v[0:1]
	ds_load_b128 v[0:3], v108 offset:22176
	ds_load_b128 v[8:11], v108 offset:23184
	scratch_load_b128 v[56:59], off, off offset:796 th:TH_LOAD_LU ; 16-byte Folded Reload
	s_wait_loadcnt_dscnt 0x1
	v_mul_f64_e32 v[28:29], v[58:59], v[2:3]
	s_delay_alu instid0(VALU_DEP_1) | instskip(SKIP_2) | instid1(VALU_DEP_2)
	v_fma_f64 v[72:73], v[56:57], v[0:1], v[28:29]
	v_mul_f64_e32 v[0:1], v[58:59], v[0:1]
	v_add_f64_e64 v[58:59], v[14:15], -v[16:17]
	v_fma_f64 v[74:75], v[56:57], v[2:3], -v[0:1]
	ds_load_b128 v[0:3], v108 offset:8064
	ds_load_b128 v[28:31], v108 offset:9072
	s_wait_dscnt 0x1
	v_mul_f64_e32 v[56:57], v[122:123], v[2:3]
	s_delay_alu instid0(VALU_DEP_1) | instskip(SKIP_1) | instid1(VALU_DEP_1)
	v_fma_f64 v[76:77], v[120:121], v[0:1], v[56:57]
	v_mul_f64_e32 v[0:1], v[122:123], v[0:1]
	v_fma_f64 v[78:79], v[120:121], v[2:3], -v[0:1]
	v_mul_f64_e32 v[0:1], v[114:115], v[26:27]
	s_delay_alu instid0(VALU_DEP_1) | instskip(SKIP_1) | instid1(VALU_DEP_1)
	v_fma_f64 v[80:81], v[112:113], v[24:25], v[0:1]
	v_mul_f64_e32 v[0:1], v[114:115], v[24:25]
	v_fma_f64 v[82:83], v[112:113], v[26:27], -v[0:1]
	ds_load_b128 v[0:3], v108 offset:18144
	ds_load_b128 v[24:27], v108 offset:19152
	v_add_f64_e64 v[111:112], v[12:13], -v[18:19]
	v_add_f64_e64 v[113:114], v[62:63], -v[74:75]
	s_wait_dscnt 0x1
	v_mul_f64_e32 v[56:57], v[126:127], v[2:3]
	s_delay_alu instid0(VALU_DEP_1) | instskip(SKIP_2) | instid1(VALU_DEP_2)
	v_fma_f64 v[84:85], v[124:125], v[0:1], v[56:57]
	v_mul_f64_e32 v[0:1], v[126:127], v[0:1]
	v_add_f64_e64 v[56:57], v[34:35], -v[38:39]
	v_fma_f64 v[86:87], v[124:125], v[2:3], -v[0:1]
	v_mul_f64_e32 v[0:1], v[118:119], v[10:11]
	s_delay_alu instid0(VALU_DEP_1) | instskip(SKIP_3) | instid1(VALU_DEP_3)
	v_fma_f64 v[88:89], v[116:117], v[8:9], v[0:1]
	v_mul_f64_e32 v[0:1], v[118:119], v[8:9]
	v_add_f64_e32 v[8:9], v[12:13], v[18:19]
	v_add_f64_e64 v[119:120], v[64:65], -v[68:69]
	v_fma_f64 v[90:91], v[116:117], v[10:11], -v[0:1]
	v_mul_f64_e32 v[0:1], v[138:139], v[30:31]
	v_add_f64_e64 v[115:116], v[66:67], -v[70:71]
	v_add_f64_e64 v[117:118], v[60:61], -v[72:73]
	s_delay_alu instid0(VALU_DEP_3) | instskip(SKIP_1) | instid1(VALU_DEP_1)
	v_fma_f64 v[92:93], v[136:137], v[28:29], v[0:1]
	v_mul_f64_e32 v[0:1], v[138:139], v[28:29]
	v_fma_f64 v[94:95], v[136:137], v[30:31], -v[0:1]
	v_mul_f64_e32 v[0:1], v[130:131], v[6:7]
	s_delay_alu instid0(VALU_DEP_1) | instskip(SKIP_1) | instid1(VALU_DEP_1)
	v_fma_f64 v[96:97], v[128:129], v[4:5], v[0:1]
	v_mul_f64_e32 v[0:1], v[130:131], v[4:5]
	v_fma_f64 v[98:99], v[128:129], v[6:7], -v[0:1]
	s_wait_dscnt 0x0
	v_mul_f64_e32 v[0:1], v[166:167], v[26:27]
	s_delay_alu instid0(VALU_DEP_1) | instskip(SKIP_1) | instid1(VALU_DEP_1)
	v_fma_f64 v[100:101], v[164:165], v[24:25], v[0:1]
	v_mul_f64_e32 v[0:1], v[166:167], v[24:25]
	v_fma_f64 v[102:103], v[164:165], v[26:27], -v[0:1]
	ds_load_b128 v[0:3], v108 offset:24192
	s_wait_dscnt 0x0
	v_mul_f64_e32 v[4:5], v[134:135], v[2:3]
	s_delay_alu instid0(VALU_DEP_1) | instskip(SKIP_1) | instid1(VALU_DEP_1)
	v_fma_f64 v[104:105], v[132:133], v[0:1], v[4:5]
	v_mul_f64_e32 v[0:1], v[134:135], v[0:1]
	v_fma_f64 v[106:107], v[132:133], v[2:3], -v[0:1]
	v_add_f64_e64 v[0:1], v[32:33], -v[12:13]
	v_add_f64_e64 v[2:3], v[36:37], -v[18:19]
	s_delay_alu instid0(VALU_DEP_1) | instskip(SKIP_2) | instid1(VALU_DEP_1)
	v_add_f64_e32 v[24:25], v[0:1], v[2:3]
	v_add_f64_e64 v[0:1], v[34:35], -v[14:15]
	v_add_f64_e64 v[2:3], v[38:39], -v[16:17]
	v_add_f64_e32 v[26:27], v[0:1], v[2:3]
	ds_load_b128 v[0:3], v108
	ds_load_b128 v[4:7], v108 offset:1008
	s_wait_dscnt 0x1
	v_fma_f64 v[28:29], v[8:9], -0.5, v[0:1]
	v_add_f64_e32 v[8:9], v[14:15], v[16:17]
	s_delay_alu instid0(VALU_DEP_1) | instskip(NEXT) | instid1(VALU_DEP_3)
	v_fma_f64 v[30:31], v[8:9], -0.5, v[2:3]
	v_fma_f64 v[8:9], v[56:57], s[10:11], v[28:29]
	v_fma_f64 v[28:29], v[56:57], s[12:13], v[28:29]
	s_delay_alu instid0(VALU_DEP_3) | instskip(SKIP_1) | instid1(VALU_DEP_4)
	v_fma_f64 v[10:11], v[109:110], s[12:13], v[30:31]
	v_fma_f64 v[30:31], v[109:110], s[10:11], v[30:31]
	;; [unrolled: 1-line block ×3, first 2 shown]
	s_wait_alu 0xfffe
	s_delay_alu instid0(VALU_DEP_4) | instskip(NEXT) | instid1(VALU_DEP_4)
	v_fma_f64 v[28:29], v[58:59], s[2:3], v[28:29]
	v_fma_f64 v[10:11], v[111:112], s[2:3], v[10:11]
	s_delay_alu instid0(VALU_DEP_4) | instskip(NEXT) | instid1(VALU_DEP_4)
	v_fma_f64 v[30:31], v[111:112], s[0:1], v[30:31]
	v_fma_f64 v[8:9], v[24:25], s[14:15], v[8:9]
	s_delay_alu instid0(VALU_DEP_4) | instskip(SKIP_4) | instid1(VALU_DEP_4)
	v_fma_f64 v[24:25], v[24:25], s[14:15], v[28:29]
	v_add_f64_e32 v[28:29], v[32:33], v[36:37]
	v_fma_f64 v[10:11], v[26:27], s[14:15], v[10:11]
	v_fma_f64 v[26:27], v[26:27], s[14:15], v[30:31]
	v_add_f64_e32 v[30:31], v[34:35], v[38:39]
	v_fma_f64 v[28:29], v[28:29], -0.5, v[0:1]
	v_add_f64_e32 v[0:1], v[0:1], v[32:33]
	v_add_f64_e64 v[32:33], v[12:13], -v[32:33]
	s_delay_alu instid0(VALU_DEP_4) | instskip(SKIP_1) | instid1(VALU_DEP_4)
	v_fma_f64 v[30:31], v[30:31], -0.5, v[2:3]
	v_add_f64_e32 v[2:3], v[2:3], v[34:35]
	v_add_f64_e32 v[0:1], v[0:1], v[12:13]
	v_add_f64_e64 v[12:13], v[14:15], -v[34:35]
	s_delay_alu instid0(VALU_DEP_4) | instskip(NEXT) | instid1(VALU_DEP_4)
	v_fma_f64 v[34:35], v[111:112], s[10:11], v[30:31]
	v_add_f64_e32 v[2:3], v[2:3], v[14:15]
	v_add_f64_e64 v[14:15], v[18:19], -v[36:37]
	v_add_f64_e32 v[0:1], v[0:1], v[18:19]
	v_fma_f64 v[18:19], v[58:59], s[12:13], v[28:29]
	v_fma_f64 v[28:29], v[58:59], s[10:11], v[28:29]
	;; [unrolled: 1-line block ×3, first 2 shown]
	v_add_f64_e64 v[58:59], v[46:47], -v[50:51]
	v_add_f64_e64 v[111:112], v[44:45], -v[48:49]
	v_add_f64_e32 v[2:3], v[2:3], v[16:17]
	v_add_f64_e64 v[16:17], v[16:17], -v[38:39]
	v_add_f64_e32 v[0:1], v[0:1], v[36:37]
	v_add_f64_e32 v[32:33], v[32:33], v[14:15]
	v_fma_f64 v[14:15], v[109:110], s[2:3], v[34:35]
	v_add_f64_e32 v[2:3], v[2:3], v[38:39]
	v_add_f64_e32 v[36:37], v[12:13], v[16:17]
	v_fma_f64 v[12:13], v[56:57], s[0:1], v[18:19]
	v_fma_f64 v[16:17], v[56:57], s[2:3], v[28:29]
	;; [unrolled: 1-line block ×3, first 2 shown]
	v_add_f64_e64 v[28:29], v[40:41], -v[44:45]
	v_add_f64_e64 v[30:31], v[52:53], -v[48:49]
	v_add_f64_e64 v[56:57], v[42:43], -v[54:55]
	v_add_f64_e64 v[109:110], v[40:41], -v[52:53]
	v_fma_f64 v[14:15], v[36:37], s[14:15], v[14:15]
	v_fma_f64 v[12:13], v[32:33], s[14:15], v[12:13]
	v_fma_f64 v[16:17], v[32:33], s[14:15], v[16:17]
	v_fma_f64 v[18:19], v[36:37], s[14:15], v[18:19]
	v_add_f64_e32 v[32:33], v[28:29], v[30:31]
	v_add_f64_e64 v[28:29], v[42:43], -v[46:47]
	v_add_f64_e64 v[30:31], v[54:55], -v[50:51]
	s_delay_alu instid0(VALU_DEP_1) | instskip(SKIP_2) | instid1(VALU_DEP_1)
	v_add_f64_e32 v[34:35], v[28:29], v[30:31]
	v_add_f64_e32 v[28:29], v[44:45], v[48:49]
	s_wait_dscnt 0x0
	v_fma_f64 v[36:37], v[28:29], -0.5, v[4:5]
	v_add_f64_e32 v[28:29], v[46:47], v[50:51]
	s_delay_alu instid0(VALU_DEP_1) | instskip(NEXT) | instid1(VALU_DEP_3)
	v_fma_f64 v[38:39], v[28:29], -0.5, v[6:7]
	v_fma_f64 v[28:29], v[56:57], s[10:11], v[36:37]
	v_fma_f64 v[36:37], v[56:57], s[12:13], v[36:37]
	s_delay_alu instid0(VALU_DEP_3) | instskip(NEXT) | instid1(VALU_DEP_3)
	v_fma_f64 v[30:31], v[109:110], s[12:13], v[38:39]
	v_fma_f64 v[28:29], v[58:59], s[0:1], v[28:29]
	v_fma_f64 v[38:39], v[109:110], s[10:11], v[38:39]
	s_delay_alu instid0(VALU_DEP_4) | instskip(NEXT) | instid1(VALU_DEP_4)
	v_fma_f64 v[36:37], v[58:59], s[2:3], v[36:37]
	v_fma_f64 v[30:31], v[111:112], s[2:3], v[30:31]
	s_delay_alu instid0(VALU_DEP_4) | instskip(NEXT) | instid1(VALU_DEP_4)
	v_fma_f64 v[28:29], v[32:33], s[14:15], v[28:29]
	v_fma_f64 v[38:39], v[111:112], s[0:1], v[38:39]
	s_delay_alu instid0(VALU_DEP_4) | instskip(SKIP_2) | instid1(VALU_DEP_4)
	v_fma_f64 v[32:33], v[32:33], s[14:15], v[36:37]
	v_add_f64_e32 v[36:37], v[40:41], v[52:53]
	v_fma_f64 v[30:31], v[34:35], s[14:15], v[30:31]
	v_fma_f64 v[34:35], v[34:35], s[14:15], v[38:39]
	v_add_f64_e32 v[38:39], v[42:43], v[54:55]
	s_delay_alu instid0(VALU_DEP_4) | instskip(SKIP_2) | instid1(VALU_DEP_4)
	v_fma_f64 v[36:37], v[36:37], -0.5, v[4:5]
	v_add_f64_e32 v[4:5], v[4:5], v[40:41]
	v_add_f64_e64 v[40:41], v[44:45], -v[40:41]
	v_fma_f64 v[38:39], v[38:39], -0.5, v[6:7]
	v_add_f64_e32 v[6:7], v[6:7], v[42:43]
	s_delay_alu instid0(VALU_DEP_4) | instskip(SKIP_2) | instid1(VALU_DEP_4)
	v_add_f64_e32 v[4:5], v[4:5], v[44:45]
	v_add_f64_e64 v[42:43], v[46:47], -v[42:43]
	v_add_f64_e64 v[44:45], v[48:49], -v[52:53]
	v_add_f64_e32 v[6:7], v[6:7], v[46:47]
	s_delay_alu instid0(VALU_DEP_4)
	v_add_f64_e32 v[4:5], v[4:5], v[48:49]
	v_add_f64_e64 v[46:47], v[50:51], -v[54:55]
	v_fma_f64 v[48:49], v[58:59], s[12:13], v[36:37]
	v_fma_f64 v[36:37], v[58:59], s[10:11], v[36:37]
	v_add_f64_e32 v[40:41], v[40:41], v[44:45]
	v_add_f64_e32 v[6:7], v[6:7], v[50:51]
	v_fma_f64 v[50:51], v[111:112], s[10:11], v[38:39]
	v_add_f64_e32 v[42:43], v[42:43], v[46:47]
	v_fma_f64 v[44:45], v[56:57], s[0:1], v[48:49]
	v_fma_f64 v[46:47], v[56:57], s[2:3], v[36:37]
	;; [unrolled: 1-line block ×3, first 2 shown]
	v_add_f64_e32 v[4:5], v[4:5], v[52:53]
	v_add_f64_e32 v[52:53], v[64:65], v[68:69]
	v_add_f64_e32 v[6:7], v[6:7], v[54:55]
	v_fma_f64 v[48:49], v[109:110], s[2:3], v[50:51]
	v_fma_f64 v[36:37], v[40:41], s[14:15], v[44:45]
	;; [unrolled: 1-line block ×3, first 2 shown]
	v_add_f64_e64 v[44:45], v[60:61], -v[64:65]
	v_add_f64_e64 v[46:47], v[72:73], -v[68:69]
	v_fma_f64 v[50:51], v[109:110], s[0:1], v[38:39]
	v_fma_f64 v[38:39], v[42:43], s[14:15], v[48:49]
	s_delay_alu instid0(VALU_DEP_3) | instskip(SKIP_3) | instid1(VALU_DEP_2)
	v_add_f64_e32 v[56:57], v[44:45], v[46:47]
	v_add_f64_e64 v[44:45], v[62:63], -v[66:67]
	v_add_f64_e64 v[46:47], v[74:75], -v[70:71]
	v_fma_f64 v[42:43], v[42:43], s[14:15], v[50:51]
	v_add_f64_e32 v[58:59], v[44:45], v[46:47]
	ds_load_b128 v[44:47], v108 offset:2016
	ds_load_b128 v[48:51], v108 offset:3024
	s_wait_dscnt 0x1
	v_fma_f64 v[109:110], v[52:53], -0.5, v[44:45]
	v_add_f64_e32 v[52:53], v[66:67], v[70:71]
	s_delay_alu instid0(VALU_DEP_1) | instskip(NEXT) | instid1(VALU_DEP_3)
	v_fma_f64 v[111:112], v[52:53], -0.5, v[46:47]
	v_fma_f64 v[52:53], v[113:114], s[10:11], v[109:110]
	v_fma_f64 v[109:110], v[113:114], s[12:13], v[109:110]
	s_delay_alu instid0(VALU_DEP_3) | instskip(NEXT) | instid1(VALU_DEP_3)
	v_fma_f64 v[54:55], v[117:118], s[12:13], v[111:112]
	v_fma_f64 v[52:53], v[115:116], s[0:1], v[52:53]
	;; [unrolled: 1-line block ×3, first 2 shown]
	s_delay_alu instid0(VALU_DEP_4) | instskip(NEXT) | instid1(VALU_DEP_4)
	v_fma_f64 v[109:110], v[115:116], s[2:3], v[109:110]
	v_fma_f64 v[54:55], v[119:120], s[2:3], v[54:55]
	s_delay_alu instid0(VALU_DEP_4) | instskip(NEXT) | instid1(VALU_DEP_4)
	v_fma_f64 v[52:53], v[56:57], s[14:15], v[52:53]
	v_fma_f64 v[111:112], v[119:120], s[0:1], v[111:112]
	s_delay_alu instid0(VALU_DEP_4) | instskip(SKIP_2) | instid1(VALU_DEP_4)
	v_fma_f64 v[56:57], v[56:57], s[14:15], v[109:110]
	v_add_f64_e32 v[109:110], v[60:61], v[72:73]
	v_fma_f64 v[54:55], v[58:59], s[14:15], v[54:55]
	v_fma_f64 v[58:59], v[58:59], s[14:15], v[111:112]
	v_add_f64_e32 v[111:112], v[62:63], v[74:75]
	s_delay_alu instid0(VALU_DEP_4) | instskip(SKIP_2) | instid1(VALU_DEP_4)
	v_fma_f64 v[109:110], v[109:110], -0.5, v[44:45]
	v_add_f64_e32 v[44:45], v[44:45], v[60:61]
	v_add_f64_e64 v[60:61], v[64:65], -v[60:61]
	v_fma_f64 v[111:112], v[111:112], -0.5, v[46:47]
	v_add_f64_e32 v[46:47], v[46:47], v[62:63]
	s_delay_alu instid0(VALU_DEP_4)
	v_add_f64_e32 v[44:45], v[44:45], v[64:65]
	v_fma_f64 v[64:65], v[115:116], s[12:13], v[109:110]
	v_fma_f64 v[109:110], v[115:116], s[10:11], v[109:110]
	v_add_f64_e64 v[62:63], v[66:67], -v[62:63]
	v_add_f64_e64 v[115:116], v[82:83], -v[86:87]
	v_add_f64_e32 v[46:47], v[46:47], v[66:67]
	v_add_f64_e32 v[44:45], v[44:45], v[68:69]
	v_add_f64_e64 v[66:67], v[68:69], -v[72:73]
	v_add_f64_e64 v[68:69], v[70:71], -v[74:75]
	s_delay_alu instid0(VALU_DEP_4) | instskip(NEXT) | instid1(VALU_DEP_4)
	v_add_f64_e32 v[46:47], v[46:47], v[70:71]
	v_add_f64_e32 v[44:45], v[44:45], v[72:73]
	v_fma_f64 v[70:71], v[119:120], s[10:11], v[111:112]
	v_fma_f64 v[72:73], v[119:120], s[12:13], v[111:112]
	v_add_f64_e32 v[66:67], v[60:61], v[66:67]
	v_fma_f64 v[60:61], v[113:114], s[0:1], v[64:65]
	v_fma_f64 v[64:65], v[113:114], s[2:3], v[109:110]
	v_add_f64_e32 v[68:69], v[62:63], v[68:69]
	v_add_f64_e64 v[113:114], v[78:79], -v[90:91]
	v_add_f64_e64 v[119:120], v[80:81], -v[84:85]
	v_add_f64_e32 v[46:47], v[46:47], v[74:75]
	v_fma_f64 v[62:63], v[117:118], s[2:3], v[70:71]
	v_fma_f64 v[70:71], v[117:118], s[0:1], v[72:73]
	v_add_f64_e64 v[117:118], v[76:77], -v[88:89]
	v_fma_f64 v[60:61], v[66:67], s[14:15], v[60:61]
	v_fma_f64 v[64:65], v[66:67], s[14:15], v[64:65]
	;; [unrolled: 1-line block ×4, first 2 shown]
	v_add_f64_e64 v[68:69], v[76:77], -v[80:81]
	v_add_f64_e64 v[70:71], v[88:89], -v[84:85]
	s_delay_alu instid0(VALU_DEP_1) | instskip(SKIP_2) | instid1(VALU_DEP_1)
	v_add_f64_e32 v[72:73], v[68:69], v[70:71]
	v_add_f64_e64 v[68:69], v[78:79], -v[82:83]
	v_add_f64_e64 v[70:71], v[90:91], -v[86:87]
	v_add_f64_e32 v[74:75], v[68:69], v[70:71]
	v_add_f64_e32 v[68:69], v[80:81], v[84:85]
	s_wait_dscnt 0x0
	s_delay_alu instid0(VALU_DEP_1) | instskip(SKIP_1) | instid1(VALU_DEP_1)
	v_fma_f64 v[109:110], v[68:69], -0.5, v[48:49]
	v_add_f64_e32 v[68:69], v[82:83], v[86:87]
	v_fma_f64 v[111:112], v[68:69], -0.5, v[50:51]
	s_delay_alu instid0(VALU_DEP_3) | instskip(SKIP_1) | instid1(VALU_DEP_3)
	v_fma_f64 v[68:69], v[113:114], s[10:11], v[109:110]
	v_fma_f64 v[109:110], v[113:114], s[12:13], v[109:110]
	v_fma_f64 v[70:71], v[117:118], s[12:13], v[111:112]
	s_delay_alu instid0(VALU_DEP_3) | instskip(SKIP_1) | instid1(VALU_DEP_4)
	v_fma_f64 v[68:69], v[115:116], s[0:1], v[68:69]
	v_fma_f64 v[111:112], v[117:118], s[10:11], v[111:112]
	;; [unrolled: 1-line block ×3, first 2 shown]
	s_delay_alu instid0(VALU_DEP_4) | instskip(NEXT) | instid1(VALU_DEP_4)
	v_fma_f64 v[70:71], v[119:120], s[2:3], v[70:71]
	v_fma_f64 v[68:69], v[72:73], s[14:15], v[68:69]
	s_delay_alu instid0(VALU_DEP_4) | instskip(NEXT) | instid1(VALU_DEP_4)
	v_fma_f64 v[111:112], v[119:120], s[0:1], v[111:112]
	v_fma_f64 v[72:73], v[72:73], s[14:15], v[109:110]
	v_add_f64_e32 v[109:110], v[76:77], v[88:89]
	v_fma_f64 v[70:71], v[74:75], s[14:15], v[70:71]
	s_delay_alu instid0(VALU_DEP_4) | instskip(SKIP_1) | instid1(VALU_DEP_4)
	v_fma_f64 v[74:75], v[74:75], s[14:15], v[111:112]
	v_add_f64_e32 v[111:112], v[78:79], v[90:91]
	v_fma_f64 v[109:110], v[109:110], -0.5, v[48:49]
	v_add_f64_e32 v[48:49], v[48:49], v[76:77]
	v_add_f64_e64 v[76:77], v[80:81], -v[76:77]
	s_delay_alu instid0(VALU_DEP_4) | instskip(SKIP_1) | instid1(VALU_DEP_4)
	v_fma_f64 v[111:112], v[111:112], -0.5, v[50:51]
	v_add_f64_e32 v[50:51], v[50:51], v[78:79]
	v_add_f64_e32 v[48:49], v[48:49], v[80:81]
	v_fma_f64 v[80:81], v[115:116], s[12:13], v[109:110]
	v_fma_f64 v[109:110], v[115:116], s[10:11], v[109:110]
	v_add_f64_e64 v[78:79], v[82:83], -v[78:79]
	v_add_f64_e64 v[115:116], v[94:95], -v[106:107]
	v_add_f64_e32 v[50:51], v[50:51], v[82:83]
	v_add_f64_e32 v[48:49], v[48:49], v[84:85]
	v_add_f64_e64 v[82:83], v[84:85], -v[88:89]
	v_add_f64_e64 v[84:85], v[86:87], -v[90:91]
	s_delay_alu instid0(VALU_DEP_4) | instskip(NEXT) | instid1(VALU_DEP_4)
	v_add_f64_e32 v[50:51], v[50:51], v[86:87]
	v_add_f64_e32 v[48:49], v[48:49], v[88:89]
	v_fma_f64 v[86:87], v[119:120], s[10:11], v[111:112]
	v_fma_f64 v[88:89], v[119:120], s[12:13], v[111:112]
	v_add_f64_e32 v[82:83], v[76:77], v[82:83]
	v_fma_f64 v[76:77], v[113:114], s[0:1], v[80:81]
	v_fma_f64 v[80:81], v[113:114], s[2:3], v[109:110]
	v_add_f64_e32 v[84:85], v[78:79], v[84:85]
	v_add_f64_e64 v[113:114], v[98:99], -v[102:103]
	v_add_f64_e64 v[119:120], v[92:93], -v[104:105]
	v_add_f64_e32 v[50:51], v[50:51], v[90:91]
	v_fma_f64 v[78:79], v[117:118], s[2:3], v[86:87]
	v_fma_f64 v[86:87], v[117:118], s[0:1], v[88:89]
	v_add_f64_e64 v[117:118], v[96:97], -v[100:101]
	v_fma_f64 v[76:77], v[82:83], s[14:15], v[76:77]
	v_fma_f64 v[80:81], v[82:83], s[14:15], v[80:81]
	;; [unrolled: 1-line block ×4, first 2 shown]
	v_add_f64_e64 v[84:85], v[96:97], -v[92:93]
	v_add_f64_e64 v[86:87], v[100:101], -v[104:105]
	s_delay_alu instid0(VALU_DEP_1) | instskip(SKIP_2) | instid1(VALU_DEP_1)
	v_add_f64_e32 v[88:89], v[84:85], v[86:87]
	v_add_f64_e64 v[84:85], v[98:99], -v[94:95]
	v_add_f64_e64 v[86:87], v[102:103], -v[106:107]
	v_add_f64_e32 v[90:91], v[84:85], v[86:87]
	v_add_f64_e32 v[84:85], v[92:93], v[104:105]
	s_delay_alu instid0(VALU_DEP_1) | instskip(SKIP_1) | instid1(VALU_DEP_1)
	v_fma_f64 v[109:110], v[84:85], -0.5, v[20:21]
	v_add_f64_e32 v[84:85], v[94:95], v[106:107]
	v_fma_f64 v[111:112], v[84:85], -0.5, v[22:23]
	s_delay_alu instid0(VALU_DEP_3) | instskip(SKIP_1) | instid1(VALU_DEP_3)
	v_fma_f64 v[84:85], v[113:114], s[12:13], v[109:110]
	v_fma_f64 v[109:110], v[113:114], s[10:11], v[109:110]
	;; [unrolled: 1-line block ×4, first 2 shown]
	s_delay_alu instid0(VALU_DEP_4) | instskip(NEXT) | instid1(VALU_DEP_4)
	v_fma_f64 v[84:85], v[115:116], s[0:1], v[84:85]
	v_fma_f64 v[109:110], v[115:116], s[2:3], v[109:110]
	s_delay_alu instid0(VALU_DEP_4) | instskip(NEXT) | instid1(VALU_DEP_4)
	v_fma_f64 v[86:87], v[119:120], s[2:3], v[86:87]
	v_fma_f64 v[111:112], v[119:120], s[0:1], v[111:112]
	;; [unrolled: 3-line block ×3, first 2 shown]
	v_add_f64_e32 v[109:110], v[96:97], v[100:101]
	v_fma_f64 v[86:87], v[90:91], s[14:15], v[86:87]
	v_fma_f64 v[90:91], v[90:91], s[14:15], v[111:112]
	v_add_f64_e32 v[111:112], v[98:99], v[102:103]
	s_delay_alu instid0(VALU_DEP_4) | instskip(SKIP_2) | instid1(VALU_DEP_4)
	v_fma_f64 v[109:110], v[109:110], -0.5, v[20:21]
	v_add_f64_e32 v[20:21], v[20:21], v[92:93]
	v_add_f64_e64 v[92:93], v[92:93], -v[96:97]
	v_fma_f64 v[111:112], v[111:112], -0.5, v[22:23]
	v_add_f64_e32 v[22:23], v[22:23], v[94:95]
	v_fma_f64 v[121:122], v[115:116], s[10:11], v[109:110]
	v_add_f64_e32 v[20:21], v[20:21], v[96:97]
	v_add_f64_e64 v[94:95], v[94:95], -v[98:99]
	v_add_f64_e64 v[96:97], v[104:105], -v[100:101]
	v_fma_f64 v[109:110], v[115:116], s[12:13], v[109:110]
	v_add_f64_e32 v[22:23], v[22:23], v[98:99]
	v_add_f64_e64 v[98:99], v[106:107], -v[102:103]
	v_add_f64_e32 v[20:21], v[20:21], v[100:101]
	v_fma_f64 v[100:101], v[119:120], s[12:13], v[111:112]
	v_add_f64_e32 v[96:97], v[92:93], v[96:97]
	v_fma_f64 v[92:93], v[113:114], s[0:1], v[121:122]
	;; [unrolled: 2-line block ×5, first 2 shown]
	v_fma_f64 v[92:93], v[96:97], s[14:15], v[92:93]
	s_mov_b32 s2, 0xae67b348
	s_mov_b32 s3, 0x3f44ce19
	v_add_f64_e32 v[22:23], v[22:23], v[106:107]
	v_fma_f64 v[100:101], v[117:118], s[0:1], v[102:103]
	v_fma_f64 v[94:95], v[98:99], s[14:15], v[94:95]
	;; [unrolled: 1-line block ×3, first 2 shown]
	s_delay_alu instid0(VALU_DEP_3)
	v_fma_f64 v[98:99], v[98:99], s[14:15], v[100:101]
	ds_store_b128 v108, v[0:3]
	ds_store_b128 v108, v[4:7] offset:1008
	ds_store_b128 v108, v[12:15] offset:10080
	;; [unrolled: 1-line block ×24, first 2 shown]
	global_wb scope:SCOPE_SE
	s_wait_dscnt 0x0
	s_barrier_signal -1
	s_barrier_wait -1
	global_inv scope:SCOPE_SE
	ds_load_b128 v[0:3], v108
	ds_load_b128 v[4:7], v108 offset:1008
	s_clause 0x1
	scratch_load_b128 v[18:21], off, off offset:324 th:TH_LOAD_LU
	scratch_load_b128 v[22:25], off, off offset:356 th:TH_LOAD_LU
	ds_load_b128 v[8:11], v108 offset:8400
	s_wait_loadcnt_dscnt 0x102
	v_mul_f64_e32 v[12:13], v[20:21], v[2:3]
	v_mul_f64_e32 v[14:15], v[20:21], v[0:1]
	s_delay_alu instid0(VALU_DEP_2) | instskip(NEXT) | instid1(VALU_DEP_2)
	v_fma_f64 v[16:17], v[18:19], v[0:1], v[12:13]
	v_fma_f64 v[18:19], v[18:19], v[2:3], -v[14:15]
	ds_load_b128 v[0:3], v108 offset:9408
	s_wait_loadcnt_dscnt 0x1
	v_mul_f64_e32 v[12:13], v[24:25], v[10:11]
	v_mul_f64_e32 v[14:15], v[24:25], v[8:9]
	s_delay_alu instid0(VALU_DEP_2) | instskip(NEXT) | instid1(VALU_DEP_2)
	v_fma_f64 v[20:21], v[22:23], v[8:9], v[12:13]
	v_fma_f64 v[22:23], v[22:23], v[10:11], -v[14:15]
	ds_load_b128 v[8:11], v108 offset:16800
	ds_load_b128 v[12:15], v108 offset:17808
	s_clause 0x5
	scratch_load_b128 v[26:29], off, off offset:372 th:TH_LOAD_LU
	scratch_load_b128 v[34:37], off, off offset:340 th:TH_LOAD_LU
	;; [unrolled: 1-line block ×6, first 2 shown]
	s_wait_loadcnt_dscnt 0x501
	v_mul_f64_e32 v[24:25], v[28:29], v[10:11]
	s_delay_alu instid0(VALU_DEP_1) | instskip(SKIP_1) | instid1(VALU_DEP_1)
	v_fma_f64 v[24:25], v[26:27], v[8:9], v[24:25]
	v_mul_f64_e32 v[8:9], v[28:29], v[8:9]
	v_fma_f64 v[26:27], v[26:27], v[10:11], -v[8:9]
	s_wait_loadcnt 0x3
	v_mul_f64_e32 v[8:9], v[32:33], v[6:7]
	v_mul_f64_e32 v[10:11], v[32:33], v[4:5]
	s_delay_alu instid0(VALU_DEP_2) | instskip(NEXT) | instid1(VALU_DEP_2)
	v_fma_f64 v[28:29], v[30:31], v[4:5], v[8:9]
	v_fma_f64 v[30:31], v[30:31], v[6:7], -v[10:11]
	v_mul_f64_e32 v[4:5], v[36:37], v[2:3]
	v_mul_f64_e32 v[6:7], v[36:37], v[0:1]
	s_wait_loadcnt_dscnt 0x100
	v_mul_f64_e32 v[8:9], v[40:41], v[14:15]
	v_mul_f64_e32 v[10:11], v[40:41], v[12:13]
	s_delay_alu instid0(VALU_DEP_4) | instskip(NEXT) | instid1(VALU_DEP_4)
	v_fma_f64 v[32:33], v[34:35], v[0:1], v[4:5]
	v_fma_f64 v[34:35], v[34:35], v[2:3], -v[6:7]
	ds_load_b128 v[0:3], v108 offset:2016
	ds_load_b128 v[4:7], v108 offset:3024
	v_fma_f64 v[36:37], v[38:39], v[12:13], v[8:9]
	v_fma_f64 v[38:39], v[38:39], v[14:15], -v[10:11]
	ds_load_b128 v[8:11], v108 offset:10416
	s_wait_loadcnt_dscnt 0x2
	v_mul_f64_e32 v[12:13], v[44:45], v[2:3]
	v_mul_f64_e32 v[14:15], v[44:45], v[0:1]
	s_delay_alu instid0(VALU_DEP_2) | instskip(NEXT) | instid1(VALU_DEP_2)
	v_fma_f64 v[40:41], v[42:43], v[0:1], v[12:13]
	v_fma_f64 v[42:43], v[42:43], v[2:3], -v[14:15]
	ds_load_b128 v[0:3], v108 offset:11424
	s_wait_dscnt 0x1
	v_mul_f64_e32 v[12:13], v[48:49], v[10:11]
	v_mul_f64_e32 v[14:15], v[48:49], v[8:9]
	s_delay_alu instid0(VALU_DEP_2) | instskip(NEXT) | instid1(VALU_DEP_2)
	v_fma_f64 v[44:45], v[46:47], v[8:9], v[12:13]
	v_fma_f64 v[46:47], v[46:47], v[10:11], -v[14:15]
	ds_load_b128 v[8:11], v108 offset:18816
	ds_load_b128 v[12:15], v108 offset:19824
	s_clause 0x6
	scratch_load_b128 v[50:53], off, off offset:292 th:TH_LOAD_LU
	scratch_load_b128 v[54:57], off, off offset:212 th:TH_LOAD_LU
	;; [unrolled: 1-line block ×7, first 2 shown]
	s_wait_loadcnt_dscnt 0x601
	v_mul_f64_e32 v[48:49], v[52:53], v[10:11]
	s_wait_loadcnt 0x4
	v_mul_f64_e32 v[58:59], v[64:65], v[2:3]
	v_mul_f64_e32 v[60:61], v[64:65], v[0:1]
	s_delay_alu instid0(VALU_DEP_3) | instskip(SKIP_1) | instid1(VALU_DEP_1)
	v_fma_f64 v[48:49], v[50:51], v[8:9], v[48:49]
	v_mul_f64_e32 v[8:9], v[52:53], v[8:9]
	v_fma_f64 v[50:51], v[50:51], v[10:11], -v[8:9]
	v_mul_f64_e32 v[8:9], v[56:57], v[6:7]
	v_mul_f64_e32 v[10:11], v[56:57], v[4:5]
	s_delay_alu instid0(VALU_DEP_2)
	v_fma_f64 v[52:53], v[54:55], v[4:5], v[8:9]
	scratch_load_b64 v[4:5], off, off offset:28 th:TH_LOAD_LU ; 8-byte Folded Reload
	v_fma_f64 v[54:55], v[54:55], v[6:7], -v[10:11]
	scratch_load_b32 v11, off, off th:TH_LOAD_LU ; 4-byte Folded Reload
	s_wait_alu 0xfffe
	v_mul_f64_e32 v[6:7], s[2:3], v[18:19]
	v_mul_f64_e32 v[18:19], s[2:3], v[26:27]
	;; [unrolled: 1-line block ×3, first 2 shown]
	s_wait_loadcnt 0x1
	v_mov_b32_e32 v5, v4
	s_wait_loadcnt 0x0
	v_mad_co_u64_u32 v[56:57], null, s4, v11, 0
	s_delay_alu instid0(VALU_DEP_2) | instskip(NEXT) | instid1(VALU_DEP_2)
	v_mad_co_u64_u32 v[8:9], null, s6, v5, 0
	v_mov_b32_e32 v10, v57
	s_delay_alu instid0(VALU_DEP_2) | instskip(NEXT) | instid1(VALU_DEP_2)
	v_mov_b32_e32 v4, v9
	v_mad_co_u64_u32 v[10:11], null, s5, v11, v[10:11]
	s_delay_alu instid0(VALU_DEP_2) | instskip(NEXT) | instid1(VALU_DEP_2)
	v_mad_co_u64_u32 v[4:5], null, s7, v5, v[4:5]
	v_mov_b32_e32 v57, v10
	v_mul_f64_e32 v[10:11], s[2:3], v[22:23]
	s_delay_alu instid0(VALU_DEP_3) | instskip(SKIP_1) | instid1(VALU_DEP_2)
	v_mov_b32_e32 v9, v4
	v_mul_f64_e32 v[4:5], s[2:3], v[16:17]
	v_lshlrev_b64_e32 v[16:17], 4, v[8:9]
	v_mul_f64_e32 v[8:9], s[2:3], v[20:21]
	v_lshlrev_b64_e32 v[20:21], 4, v[56:57]
	v_fma_f64 v[56:57], v[62:63], v[0:1], v[58:59]
	v_fma_f64 v[58:59], v[62:63], v[2:3], -v[60:61]
	v_mul_f64_e32 v[0:1], s[2:3], v[28:29]
	v_add_co_u32 v22, s0, s8, v16
	s_wait_alu 0xf1ff
	v_add_co_ci_u32_e64 v23, s0, s9, v17, s0
	v_mul_f64_e32 v[16:17], s[2:3], v[24:25]
	s_delay_alu instid0(VALU_DEP_3) | instskip(SKIP_1) | instid1(VALU_DEP_3)
	v_add_co_u32 v24, s0, v22, v20
	s_wait_alu 0xf1ff
	v_add_co_ci_u32_e64 v25, s0, v23, v21, s0
	v_mul_f64_e32 v[2:3], s[2:3], v[30:31]
	s_mul_u64 s[0:1], s[4:5], 0x20d
	ds_load_b128 v[20:23], v108 offset:4032
	s_wait_alu 0xfffe
	s_lshl_b64 s[6:7], s[0:1], 4
	v_mul_f64_e32 v[30:31], s[2:3], v[42:43]
	global_store_b128 v[24:25], v[4:7], off
	ds_load_b128 v[4:7], v108 offset:5040
	s_wait_alu 0xfffe
	v_add_co_u32 v24, s0, v24, s6
	s_wait_alu 0xf1ff
	v_add_co_ci_u32_e64 v25, s0, s7, v25, s0
	s_movk_i32 s0, 0xfc25
	s_mov_b32 s1, -1
	s_wait_dscnt 0x1
	v_mul_f64_e32 v[64:65], v[70:71], v[22:23]
	s_wait_alu 0xfffe
	s_mul_u64 s[4:5], s[4:5], s[0:1]
	v_add_co_u32 v28, s0, v24, s6
	s_wait_alu 0xf1ff
	v_add_co_ci_u32_e64 v29, s0, s7, v25, s0
	global_store_b128 v[24:25], v[8:11], off
	s_wait_alu 0xfffe
	s_lshl_b64 s[4:5], s[4:5], 4
	v_mul_f64_e32 v[24:25], s[2:3], v[36:37]
	global_store_b128 v[28:29], v[16:19], off
	ds_load_b128 v[16:19], v108 offset:12432
	s_wait_alu 0xfffe
	v_add_co_u32 v36, s0, v28, s4
	s_wait_alu 0xf1ff
	v_add_co_ci_u32_e64 v37, s0, s5, v29, s0
	v_mul_f64_e32 v[28:29], s[2:3], v[40:41]
	s_delay_alu instid0(VALU_DEP_3) | instskip(SKIP_1) | instid1(VALU_DEP_3)
	v_add_co_u32 v38, s0, v36, s6
	s_wait_alu 0xf1ff
	v_add_co_ci_u32_e64 v39, s0, s7, v37, s0
	global_store_b128 v[36:37], v[0:3], off
	ds_load_b128 v[0:3], v108 offset:13440
	v_mul_f64_e32 v[66:67], v[70:71], v[20:21]
	v_mul_f64_e32 v[8:9], s[2:3], v[32:33]
	;; [unrolled: 1-line block ×3, first 2 shown]
	ds_load_b128 v[32:35], v108 offset:20832
	s_wait_dscnt 0x2
	v_mul_f64_e32 v[36:37], v[84:85], v[18:19]
	v_mul_f64_e32 v[40:41], v[84:85], v[16:17]
	scratch_load_b128 v[84:87], off, off offset:84 th:TH_LOAD_LU ; 16-byte Folded Reload
	v_mul_f64_e32 v[60:61], v[74:75], v[14:15]
	v_mul_f64_e32 v[62:63], v[74:75], v[12:13]
	v_fma_f64 v[64:65], v[68:69], v[20:21], v[64:65]
	v_fma_f64 v[66:67], v[68:69], v[22:23], -v[66:67]
	ds_load_b128 v[20:23], v108 offset:21840
	global_store_b128 v[38:39], v[8:11], off
	v_mul_f64_e32 v[8:9], s[2:3], v[48:49]
	v_fma_f64 v[60:61], v[72:73], v[12:13], v[60:61]
	v_mul_f64_e32 v[12:13], s[2:3], v[44:45]
	v_fma_f64 v[62:63], v[72:73], v[14:15], -v[62:63]
	v_mul_f64_e32 v[14:15], s[2:3], v[46:47]
	v_add_co_u32 v46, s0, v38, s6
	s_wait_alu 0xf1ff
	v_add_co_ci_u32_e64 v47, s0, s7, v39, s0
	v_mul_f64_e32 v[48:49], s[2:3], v[64:65]
	s_delay_alu instid0(VALU_DEP_3) | instskip(SKIP_1) | instid1(VALU_DEP_3)
	v_add_co_u32 v10, s0, v46, s4
	s_wait_alu 0xf1ff
	v_add_co_ci_u32_e64 v11, s0, s5, v47, s0
	global_store_b128 v[46:47], v[24:27], off
	v_add_co_u32 v24, s0, v10, s6
	s_wait_alu 0xf1ff
	v_add_co_ci_u32_e64 v25, s0, s7, v11, s0
	global_store_b128 v[10:11], v[28:31], off
	v_add_co_u32 v80, s0, v24, s6
	s_wait_alu 0xf1ff
	v_add_co_ci_u32_e64 v81, s0, s7, v25, s0
	v_mul_f64_e32 v[10:11], s[2:3], v[50:51]
	ds_load_b128 v[28:31], v108 offset:14448
	v_mul_f64_e32 v[50:51], s[2:3], v[66:67]
	v_mul_f64_e32 v[46:47], s[2:3], v[62:63]
	global_store_b128 v[24:25], v[12:15], off
	ds_load_b128 v[24:27], v108 offset:6048
	v_mul_f64_e32 v[12:13], s[2:3], v[52:53]
	v_mul_f64_e32 v[14:15], s[2:3], v[54:55]
	v_fma_f64 v[52:53], v[82:83], v[16:17], v[36:37]
	ds_load_b128 v[36:39], v108 offset:7056
	v_fma_f64 v[54:55], v[82:83], v[18:19], -v[40:41]
	ds_load_b128 v[16:19], v108 offset:22848
	v_mul_f64_e32 v[40:41], s[2:3], v[56:57]
	global_store_b128 v[80:81], v[8:11], off
	v_add_co_u32 v8, s0, v80, s4
	s_wait_alu 0xf1ff
	v_add_co_ci_u32_e64 v9, s0, s5, v81, s0
	s_delay_alu instid0(VALU_DEP_2) | instskip(SKIP_1) | instid1(VALU_DEP_2)
	v_add_co_u32 v10, s0, v8, s6
	s_wait_alu 0xf1ff
	v_add_co_ci_u32_e64 v11, s0, s7, v9, s0
	s_delay_alu instid0(VALU_DEP_2) | instskip(SKIP_1) | instid1(VALU_DEP_2)
	v_add_co_u32 v80, s0, v10, s6
	s_wait_alu 0xf1ff
	v_add_co_ci_u32_e64 v81, s0, s7, v11, s0
	global_store_b128 v[8:9], v[12:15], off
	v_add_co_u32 v8, s0, v80, s4
	s_wait_alu 0xf1ff
	v_add_co_ci_u32_e64 v9, s0, s5, v81, s0
	s_wait_loadcnt_dscnt 0x5
	v_mul_f64_e32 v[42:43], v[86:87], v[34:35]
	v_mul_f64_e32 v[44:45], v[86:87], v[32:33]
	scratch_load_b128 v[86:89], off, off offset:36 th:TH_LOAD_LU ; 16-byte Folded Reload
	v_fma_f64 v[82:83], v[84:85], v[32:33], v[42:43]
	v_fma_f64 v[84:85], v[84:85], v[34:35], -v[44:45]
	v_mul_f64_e32 v[42:43], s[2:3], v[58:59]
	v_mul_f64_e32 v[44:45], s[2:3], v[60:61]
	ds_load_b128 v[32:35], v108 offset:15456
	s_wait_dscnt 0x3
	v_mul_f64_e32 v[58:59], v[100:101], v[26:27]
	v_mul_f64_e32 v[60:61], v[100:101], v[24:25]
	scratch_load_b128 v[100:103], off, off offset:164 th:TH_LOAD_LU ; 16-byte Folded Reload
	v_fma_f64 v[24:25], v[98:99], v[24:25], v[58:59]
	v_fma_f64 v[26:27], v[98:99], v[26:27], -v[60:61]
	s_wait_loadcnt 0x1
	v_mul_f64_e32 v[68:69], v[88:89], v[6:7]
	v_mul_f64_e32 v[70:71], v[88:89], v[4:5]
	scratch_load_b128 v[88:91], off, off offset:52 th:TH_LOAD_LU ; 16-byte Folded Reload
	v_fma_f64 v[56:57], v[86:87], v[4:5], v[68:69]
	v_fma_f64 v[68:69], v[86:87], v[6:7], -v[70:71]
	ds_load_b128 v[4:7], v108 offset:23856
	s_wait_loadcnt 0x0
	v_mul_f64_e32 v[72:73], v[90:91], v[2:3]
	v_mul_f64_e32 v[74:75], v[90:91], v[0:1]
	scratch_load_b128 v[90:93], off, off offset:100 th:TH_LOAD_LU ; 16-byte Folded Reload
	v_fma_f64 v[64:65], v[88:89], v[0:1], v[72:73]
	v_fma_f64 v[66:67], v[88:89], v[2:3], -v[74:75]
	s_wait_dscnt 0x3
	v_mul_f64_e32 v[72:73], v[102:103], v[38:39]
	v_mul_f64_e32 v[74:75], v[102:103], v[36:37]
	scratch_load_b128 v[102:105], off, off offset:276 th:TH_LOAD_LU ; 16-byte Folded Reload
	v_mul_f64_e32 v[12:13], s[2:3], v[64:65]
	v_mul_f64_e32 v[14:15], s[2:3], v[66:67]
	v_fma_f64 v[36:37], v[100:101], v[36:37], v[72:73]
	v_fma_f64 v[38:39], v[100:101], v[38:39], -v[74:75]
	s_wait_loadcnt 0x1
	v_mul_f64_e32 v[76:77], v[92:93], v[22:23]
	v_mul_f64_e32 v[78:79], v[92:93], v[20:21]
	scratch_load_b128 v[92:95], off, off offset:116 th:TH_LOAD_LU ; 16-byte Folded Reload
	v_fma_f64 v[20:21], v[90:91], v[20:21], v[76:77]
	v_fma_f64 v[22:23], v[90:91], v[22:23], -v[78:79]
	s_wait_loadcnt_dscnt 0x101
	v_mul_f64_e32 v[76:77], v[104:105], v[34:35]
	v_mul_f64_e32 v[78:79], v[104:105], v[32:33]
	scratch_load_b128 v[104:107], off, off offset:308 th:TH_LOAD_LU ; 16-byte Folded Reload
	s_wait_loadcnt 0x1
	v_mul_f64_e32 v[62:63], v[94:95], v[30:31]
	v_mul_f64_e32 v[0:1], v[94:95], v[28:29]
	scratch_load_b128 v[94:97], off, off offset:132 th:TH_LOAD_LU ; 16-byte Folded Reload
	global_store_b128 v[10:11], v[40:43], off
	global_store_b128 v[80:81], v[44:47], off
	;; [unrolled: 1-line block ×3, first 2 shown]
	v_fma_f64 v[44:45], v[102:103], v[32:33], v[76:77]
	v_fma_f64 v[46:47], v[102:103], v[34:35], -v[78:79]
	v_mul_f64_e32 v[10:11], s[2:3], v[68:69]
	v_mul_f64_e32 v[32:33], s[2:3], v[36:37]
	;; [unrolled: 1-line block ×3, first 2 shown]
	v_fma_f64 v[28:29], v[92:93], v[28:29], v[62:63]
	v_fma_f64 v[30:31], v[92:93], v[30:31], -v[0:1]
	s_wait_loadcnt_dscnt 0x100
	v_mul_f64_e32 v[86:87], v[106:107], v[6:7]
	v_mul_f64_e32 v[88:89], v[106:107], v[4:5]
	;; [unrolled: 1-line block ×3, first 2 shown]
	v_add_co_u32 v52, s0, v8, s6
	s_wait_alu 0xf1ff
	v_add_co_ci_u32_e64 v53, s0, s7, v9, s0
	v_mul_f64_e32 v[8:9], s[2:3], v[56:57]
	v_mul_f64_e32 v[36:37], s[2:3], v[44:45]
	;; [unrolled: 1-line block ×3, first 2 shown]
	v_fma_f64 v[48:49], v[104:105], v[4:5], v[86:87]
	v_fma_f64 v[50:51], v[104:105], v[6:7], -v[88:89]
	v_mul_f64_e32 v[4:5], s[2:3], v[82:83]
	v_mul_f64_e32 v[6:7], s[2:3], v[84:85]
	s_wait_loadcnt 0x0
	v_mul_f64_e32 v[2:3], v[96:97], v[18:19]
	v_mul_f64_e32 v[70:71], v[96:97], v[16:17]
	s_delay_alu instid0(VALU_DEP_2) | instskip(NEXT) | instid1(VALU_DEP_2)
	v_fma_f64 v[40:41], v[94:95], v[16:17], v[2:3]
	v_fma_f64 v[42:43], v[94:95], v[18:19], -v[70:71]
	v_mul_f64_e32 v[2:3], s[2:3], v[54:55]
	v_add_co_u32 v54, s0, v52, s6
	s_wait_alu 0xf1ff
	v_add_co_ci_u32_e64 v55, s0, s7, v53, s0
	v_mul_f64_e32 v[16:17], s[2:3], v[20:21]
	s_delay_alu instid0(VALU_DEP_3) | instskip(SKIP_1) | instid1(VALU_DEP_3)
	v_add_co_u32 v56, s0, v54, s4
	s_wait_alu 0xf1ff
	v_add_co_ci_u32_e64 v57, s0, s5, v55, s0
	v_mul_f64_e32 v[18:19], s[2:3], v[22:23]
	v_mul_f64_e32 v[20:21], s[2:3], v[24:25]
	;; [unrolled: 1-line block ×3, first 2 shown]
	v_add_co_u32 v58, s0, v56, s6
	s_wait_alu 0xf1ff
	v_add_co_ci_u32_e64 v59, s0, s7, v57, s0
	v_mul_f64_e32 v[24:25], s[2:3], v[28:29]
	v_mul_f64_e32 v[26:27], s[2:3], v[30:31]
	v_add_co_u32 v44, s0, v58, s6
	s_wait_alu 0xf1ff
	v_add_co_ci_u32_e64 v45, s0, s7, v59, s0
	v_mul_f64_e32 v[28:29], s[2:3], v[40:41]
	v_mul_f64_e32 v[30:31], s[2:3], v[42:43]
	;; [unrolled: 1-line block ×4, first 2 shown]
	global_store_b128 v[52:53], v[0:3], off
	v_add_co_u32 v0, s0, v44, s4
	s_wait_alu 0xf1ff
	v_add_co_ci_u32_e64 v1, s0, s5, v45, s0
	global_store_b128 v[54:55], v[4:7], off
	v_add_co_u32 v2, s0, v0, s6
	s_wait_alu 0xf1ff
	v_add_co_ci_u32_e64 v3, s0, s7, v1, s0
	;; [unrolled: 4-line block ×6, first 2 shown]
	global_store_b128 v[2:3], v[24:27], off
	global_store_b128 v[4:5], v[28:31], off
	;; [unrolled: 1-line block ×5, first 2 shown]
	s_and_b32 exec_lo, exec_lo, vcc_lo
	s_cbranch_execz .LBB0_31
; %bb.30:
	scratch_load_b64 v[16:17], off, off offset:4 th:TH_LOAD_LU ; 8-byte Folded Reload
	s_wait_loadcnt 0x0
	global_load_b128 v[2:5], v[16:17], off offset:8064
	ds_load_b128 v[6:9], v108 offset:8064
	ds_load_b128 v[10:13], v108 offset:16464
	s_wait_loadcnt_dscnt 0x1
	v_mul_f64_e32 v[14:15], v[8:9], v[4:5]
	v_mul_f64_e32 v[4:5], v[6:7], v[4:5]
	s_delay_alu instid0(VALU_DEP_2) | instskip(NEXT) | instid1(VALU_DEP_2)
	v_fma_f64 v[6:7], v[6:7], v[2:3], v[14:15]
	v_fma_f64 v[4:5], v[2:3], v[8:9], -v[4:5]
	s_delay_alu instid0(VALU_DEP_2) | instskip(NEXT) | instid1(VALU_DEP_2)
	v_mul_f64_e32 v[2:3], s[2:3], v[6:7]
	v_mul_f64_e32 v[4:5], s[2:3], v[4:5]
	v_add_co_u32 v6, vcc_lo, v0, s4
	s_wait_alu 0xfffd
	v_add_co_ci_u32_e32 v7, vcc_lo, s5, v1, vcc_lo
	s_delay_alu instid0(VALU_DEP_2) | instskip(SKIP_1) | instid1(VALU_DEP_2)
	v_add_co_u32 v8, vcc_lo, v6, s6
	s_wait_alu 0xfffd
	v_add_co_ci_u32_e32 v9, vcc_lo, s7, v7, vcc_lo
	global_store_b128 v[6:7], v[2:5], off
	global_load_b128 v[0:3], v[16:17], off offset:16464
	s_wait_loadcnt_dscnt 0x0
	v_mul_f64_e32 v[4:5], v[12:13], v[2:3]
	v_mul_f64_e32 v[2:3], v[10:11], v[2:3]
	s_delay_alu instid0(VALU_DEP_2) | instskip(NEXT) | instid1(VALU_DEP_2)
	v_fma_f64 v[4:5], v[10:11], v[0:1], v[4:5]
	v_fma_f64 v[2:3], v[0:1], v[12:13], -v[2:3]
	s_delay_alu instid0(VALU_DEP_2) | instskip(NEXT) | instid1(VALU_DEP_2)
	v_mul_f64_e32 v[0:1], s[2:3], v[4:5]
	v_mul_f64_e32 v[2:3], s[2:3], v[2:3]
	ds_load_b128 v[4:7], v108 offset:24864
	global_store_b128 v[8:9], v[0:3], off
	global_load_b128 v[0:3], v[16:17], off offset:24864
	s_wait_loadcnt_dscnt 0x0
	v_mul_f64_e32 v[10:11], v[6:7], v[2:3]
	v_mul_f64_e32 v[2:3], v[4:5], v[2:3]
	s_delay_alu instid0(VALU_DEP_2) | instskip(NEXT) | instid1(VALU_DEP_2)
	v_fma_f64 v[4:5], v[4:5], v[0:1], v[10:11]
	v_fma_f64 v[2:3], v[0:1], v[6:7], -v[2:3]
	s_delay_alu instid0(VALU_DEP_2) | instskip(NEXT) | instid1(VALU_DEP_2)
	v_mul_f64_e32 v[0:1], s[2:3], v[4:5]
	v_mul_f64_e32 v[2:3], s[2:3], v[2:3]
	v_add_co_u32 v4, vcc_lo, v8, s6
	s_wait_alu 0xfffd
	v_add_co_ci_u32_e32 v5, vcc_lo, s7, v9, vcc_lo
	global_store_b128 v[4:5], v[0:3], off
.LBB0_31:
	s_nop 0
	s_sendmsg sendmsg(MSG_DEALLOC_VGPRS)
	s_endpgm
	.section	.rodata,"a",@progbits
	.p2align	6, 0x0
	.amdhsa_kernel bluestein_single_back_len1575_dim1_dp_op_CI_CI
		.amdhsa_group_segment_fixed_size 25200
		.amdhsa_private_segment_fixed_size 1496
		.amdhsa_kernarg_size 104
		.amdhsa_user_sgpr_count 2
		.amdhsa_user_sgpr_dispatch_ptr 0
		.amdhsa_user_sgpr_queue_ptr 0
		.amdhsa_user_sgpr_kernarg_segment_ptr 1
		.amdhsa_user_sgpr_dispatch_id 0
		.amdhsa_user_sgpr_private_segment_size 0
		.amdhsa_wavefront_size32 1
		.amdhsa_uses_dynamic_stack 0
		.amdhsa_enable_private_segment 1
		.amdhsa_system_sgpr_workgroup_id_x 1
		.amdhsa_system_sgpr_workgroup_id_y 0
		.amdhsa_system_sgpr_workgroup_id_z 0
		.amdhsa_system_sgpr_workgroup_info 0
		.amdhsa_system_vgpr_workitem_id 0
		.amdhsa_next_free_vgpr 256
		.amdhsa_next_free_sgpr 32
		.amdhsa_reserve_vcc 1
		.amdhsa_float_round_mode_32 0
		.amdhsa_float_round_mode_16_64 0
		.amdhsa_float_denorm_mode_32 3
		.amdhsa_float_denorm_mode_16_64 3
		.amdhsa_fp16_overflow 0
		.amdhsa_workgroup_processor_mode 1
		.amdhsa_memory_ordered 1
		.amdhsa_forward_progress 0
		.amdhsa_round_robin_scheduling 0
		.amdhsa_exception_fp_ieee_invalid_op 0
		.amdhsa_exception_fp_denorm_src 0
		.amdhsa_exception_fp_ieee_div_zero 0
		.amdhsa_exception_fp_ieee_overflow 0
		.amdhsa_exception_fp_ieee_underflow 0
		.amdhsa_exception_fp_ieee_inexact 0
		.amdhsa_exception_int_div_zero 0
	.end_amdhsa_kernel
	.text
.Lfunc_end0:
	.size	bluestein_single_back_len1575_dim1_dp_op_CI_CI, .Lfunc_end0-bluestein_single_back_len1575_dim1_dp_op_CI_CI
                                        ; -- End function
	.section	.AMDGPU.csdata,"",@progbits
; Kernel info:
; codeLenInByte = 39480
; NumSgprs: 34
; NumVgprs: 256
; ScratchSize: 1496
; MemoryBound: 0
; FloatMode: 240
; IeeeMode: 1
; LDSByteSize: 25200 bytes/workgroup (compile time only)
; SGPRBlocks: 4
; VGPRBlocks: 31
; NumSGPRsForWavesPerEU: 34
; NumVGPRsForWavesPerEU: 256
; Occupancy: 3
; WaveLimiterHint : 1
; COMPUTE_PGM_RSRC2:SCRATCH_EN: 1
; COMPUTE_PGM_RSRC2:USER_SGPR: 2
; COMPUTE_PGM_RSRC2:TRAP_HANDLER: 0
; COMPUTE_PGM_RSRC2:TGID_X_EN: 1
; COMPUTE_PGM_RSRC2:TGID_Y_EN: 0
; COMPUTE_PGM_RSRC2:TGID_Z_EN: 0
; COMPUTE_PGM_RSRC2:TIDIG_COMP_CNT: 0
	.text
	.p2alignl 7, 3214868480
	.fill 96, 4, 3214868480
	.type	__hip_cuid_3643c05e32484ca4,@object ; @__hip_cuid_3643c05e32484ca4
	.section	.bss,"aw",@nobits
	.globl	__hip_cuid_3643c05e32484ca4
__hip_cuid_3643c05e32484ca4:
	.byte	0                               ; 0x0
	.size	__hip_cuid_3643c05e32484ca4, 1

	.ident	"AMD clang version 19.0.0git (https://github.com/RadeonOpenCompute/llvm-project roc-6.4.0 25133 c7fe45cf4b819c5991fe208aaa96edf142730f1d)"
	.section	".note.GNU-stack","",@progbits
	.addrsig
	.addrsig_sym __hip_cuid_3643c05e32484ca4
	.amdgpu_metadata
---
amdhsa.kernels:
  - .args:
      - .actual_access:  read_only
        .address_space:  global
        .offset:         0
        .size:           8
        .value_kind:     global_buffer
      - .actual_access:  read_only
        .address_space:  global
        .offset:         8
        .size:           8
        .value_kind:     global_buffer
      - .actual_access:  read_only
        .address_space:  global
        .offset:         16
        .size:           8
        .value_kind:     global_buffer
      - .actual_access:  read_only
        .address_space:  global
        .offset:         24
        .size:           8
        .value_kind:     global_buffer
      - .actual_access:  read_only
        .address_space:  global
        .offset:         32
        .size:           8
        .value_kind:     global_buffer
      - .offset:         40
        .size:           8
        .value_kind:     by_value
      - .address_space:  global
        .offset:         48
        .size:           8
        .value_kind:     global_buffer
      - .address_space:  global
        .offset:         56
        .size:           8
        .value_kind:     global_buffer
      - .address_space:  global
        .offset:         64
        .size:           8
        .value_kind:     global_buffer
      - .address_space:  global
        .offset:         72
        .size:           8
        .value_kind:     global_buffer
      - .offset:         80
        .size:           4
        .value_kind:     by_value
      - .address_space:  global
        .offset:         88
        .size:           8
        .value_kind:     global_buffer
      - .address_space:  global
        .offset:         96
        .size:           8
        .value_kind:     global_buffer
    .group_segment_fixed_size: 25200
    .kernarg_segment_align: 8
    .kernarg_segment_size: 104
    .language:       OpenCL C
    .language_version:
      - 2
      - 0
    .max_flat_workgroup_size: 63
    .name:           bluestein_single_back_len1575_dim1_dp_op_CI_CI
    .private_segment_fixed_size: 1496
    .sgpr_count:     34
    .sgpr_spill_count: 0
    .symbol:         bluestein_single_back_len1575_dim1_dp_op_CI_CI.kd
    .uniform_work_group_size: 1
    .uses_dynamic_stack: false
    .vgpr_count:     256
    .vgpr_spill_count: 377
    .wavefront_size: 32
    .workgroup_processor_mode: 1
amdhsa.target:   amdgcn-amd-amdhsa--gfx1201
amdhsa.version:
  - 1
  - 2
...

	.end_amdgpu_metadata
